;; amdgpu-corpus repo=ROCm/rocFFT kind=compiled arch=gfx1201 opt=O3
	.text
	.amdgcn_target "amdgcn-amd-amdhsa--gfx1201"
	.amdhsa_code_object_version 6
	.protected	fft_rtc_back_len1911_factors_13_7_7_3_wgs_91_tpt_91_halfLds_dp_op_CI_CI_sbrr_dirReg ; -- Begin function fft_rtc_back_len1911_factors_13_7_7_3_wgs_91_tpt_91_halfLds_dp_op_CI_CI_sbrr_dirReg
	.globl	fft_rtc_back_len1911_factors_13_7_7_3_wgs_91_tpt_91_halfLds_dp_op_CI_CI_sbrr_dirReg
	.p2align	8
	.type	fft_rtc_back_len1911_factors_13_7_7_3_wgs_91_tpt_91_halfLds_dp_op_CI_CI_sbrr_dirReg,@function
fft_rtc_back_len1911_factors_13_7_7_3_wgs_91_tpt_91_halfLds_dp_op_CI_CI_sbrr_dirReg: ; @fft_rtc_back_len1911_factors_13_7_7_3_wgs_91_tpt_91_halfLds_dp_op_CI_CI_sbrr_dirReg
; %bb.0:
	s_clause 0x2
	s_load_b128 s[12:15], s[0:1], 0x18
	s_load_b128 s[8:11], s[0:1], 0x0
	;; [unrolled: 1-line block ×3, first 2 shown]
	v_mul_u32_u24_e32 v1, 0x2d1, v0
	v_mov_b32_e32 v4, 0
	v_mov_b32_e32 v5, 0
	s_wait_kmcnt 0x0
	s_load_b64 s[18:19], s[12:13], 0x0
	s_load_b64 s[16:17], s[14:15], 0x0
	v_lshrrev_b32_e32 v2, 16, v1
	v_mov_b32_e32 v1, 0
	v_cmp_lt_u64_e64 s2, s[10:11], 2
	s_delay_alu instid0(VALU_DEP_2) | instskip(NEXT) | instid1(VALU_DEP_2)
	v_dual_mov_b32 v7, v1 :: v_dual_add_nc_u32 v6, ttmp9, v2
	s_and_b32 vcc_lo, exec_lo, s2
	s_cbranch_vccnz .LBB0_8
; %bb.1:
	s_load_b64 s[2:3], s[0:1], 0x10
	v_mov_b32_e32 v4, 0
	v_mov_b32_e32 v5, 0
	s_add_nc_u64 s[20:21], s[14:15], 8
	s_add_nc_u64 s[22:23], s[12:13], 8
	s_mov_b64 s[24:25], 1
	s_delay_alu instid0(VALU_DEP_1)
	v_dual_mov_b32 v105, v5 :: v_dual_mov_b32 v104, v4
	s_wait_kmcnt 0x0
	s_add_nc_u64 s[26:27], s[2:3], 8
	s_mov_b32 s3, 0
.LBB0_2:                                ; =>This Inner Loop Header: Depth=1
	s_load_b64 s[28:29], s[26:27], 0x0
                                        ; implicit-def: $vgpr106_vgpr107
	s_mov_b32 s2, exec_lo
	s_wait_kmcnt 0x0
	v_or_b32_e32 v2, s29, v7
	s_delay_alu instid0(VALU_DEP_1)
	v_cmpx_ne_u64_e32 0, v[1:2]
	s_wait_alu 0xfffe
	s_xor_b32 s30, exec_lo, s2
	s_cbranch_execz .LBB0_4
; %bb.3:                                ;   in Loop: Header=BB0_2 Depth=1
	s_cvt_f32_u32 s2, s28
	s_cvt_f32_u32 s31, s29
	s_sub_nc_u64 s[36:37], 0, s[28:29]
	s_wait_alu 0xfffe
	s_delay_alu instid0(SALU_CYCLE_1) | instskip(SKIP_1) | instid1(SALU_CYCLE_2)
	s_fmamk_f32 s2, s31, 0x4f800000, s2
	s_wait_alu 0xfffe
	v_s_rcp_f32 s2, s2
	s_delay_alu instid0(TRANS32_DEP_1) | instskip(SKIP_1) | instid1(SALU_CYCLE_2)
	s_mul_f32 s2, s2, 0x5f7ffffc
	s_wait_alu 0xfffe
	s_mul_f32 s31, s2, 0x2f800000
	s_wait_alu 0xfffe
	s_delay_alu instid0(SALU_CYCLE_2) | instskip(SKIP_1) | instid1(SALU_CYCLE_2)
	s_trunc_f32 s31, s31
	s_wait_alu 0xfffe
	s_fmamk_f32 s2, s31, 0xcf800000, s2
	s_cvt_u32_f32 s35, s31
	s_wait_alu 0xfffe
	s_delay_alu instid0(SALU_CYCLE_1) | instskip(SKIP_1) | instid1(SALU_CYCLE_2)
	s_cvt_u32_f32 s34, s2
	s_wait_alu 0xfffe
	s_mul_u64 s[38:39], s[36:37], s[34:35]
	s_wait_alu 0xfffe
	s_mul_hi_u32 s41, s34, s39
	s_mul_i32 s40, s34, s39
	s_mul_hi_u32 s2, s34, s38
	s_mul_i32 s33, s35, s38
	s_wait_alu 0xfffe
	s_add_nc_u64 s[40:41], s[2:3], s[40:41]
	s_mul_hi_u32 s31, s35, s38
	s_mul_hi_u32 s42, s35, s39
	s_add_co_u32 s2, s40, s33
	s_wait_alu 0xfffe
	s_add_co_ci_u32 s2, s41, s31
	s_mul_i32 s38, s35, s39
	s_add_co_ci_u32 s39, s42, 0
	s_wait_alu 0xfffe
	s_add_nc_u64 s[38:39], s[2:3], s[38:39]
	s_wait_alu 0xfffe
	v_add_co_u32 v2, s2, s34, s38
	s_delay_alu instid0(VALU_DEP_1) | instskip(SKIP_1) | instid1(VALU_DEP_1)
	s_cmp_lg_u32 s2, 0
	s_add_co_ci_u32 s35, s35, s39
	v_readfirstlane_b32 s34, v2
	s_wait_alu 0xfffe
	s_delay_alu instid0(VALU_DEP_1)
	s_mul_u64 s[36:37], s[36:37], s[34:35]
	s_wait_alu 0xfffe
	s_mul_hi_u32 s39, s34, s37
	s_mul_i32 s38, s34, s37
	s_mul_hi_u32 s2, s34, s36
	s_mul_i32 s33, s35, s36
	s_wait_alu 0xfffe
	s_add_nc_u64 s[38:39], s[2:3], s[38:39]
	s_mul_hi_u32 s31, s35, s36
	s_mul_hi_u32 s34, s35, s37
	s_wait_alu 0xfffe
	s_add_co_u32 s2, s38, s33
	s_add_co_ci_u32 s2, s39, s31
	s_mul_i32 s36, s35, s37
	s_add_co_ci_u32 s37, s34, 0
	s_wait_alu 0xfffe
	s_add_nc_u64 s[36:37], s[2:3], s[36:37]
	s_wait_alu 0xfffe
	v_add_co_u32 v8, s2, v2, s36
	s_delay_alu instid0(VALU_DEP_1) | instskip(SKIP_1) | instid1(VALU_DEP_1)
	s_cmp_lg_u32 s2, 0
	s_add_co_ci_u32 s2, s35, s37
	v_mul_hi_u32 v12, v6, v8
	s_wait_alu 0xfffe
	v_mad_co_u64_u32 v[2:3], null, v6, s2, 0
	v_mad_co_u64_u32 v[8:9], null, v7, v8, 0
	;; [unrolled: 1-line block ×3, first 2 shown]
	s_delay_alu instid0(VALU_DEP_3) | instskip(SKIP_1) | instid1(VALU_DEP_4)
	v_add_co_u32 v2, vcc_lo, v12, v2
	s_wait_alu 0xfffd
	v_add_co_ci_u32_e32 v3, vcc_lo, 0, v3, vcc_lo
	s_delay_alu instid0(VALU_DEP_2) | instskip(SKIP_1) | instid1(VALU_DEP_2)
	v_add_co_u32 v2, vcc_lo, v2, v8
	s_wait_alu 0xfffd
	v_add_co_ci_u32_e32 v2, vcc_lo, v3, v9, vcc_lo
	s_wait_alu 0xfffd
	v_add_co_ci_u32_e32 v3, vcc_lo, 0, v11, vcc_lo
	s_delay_alu instid0(VALU_DEP_2) | instskip(SKIP_1) | instid1(VALU_DEP_2)
	v_add_co_u32 v8, vcc_lo, v2, v10
	s_wait_alu 0xfffd
	v_add_co_ci_u32_e32 v9, vcc_lo, 0, v3, vcc_lo
	s_delay_alu instid0(VALU_DEP_2) | instskip(SKIP_1) | instid1(VALU_DEP_3)
	v_mul_lo_u32 v10, s29, v8
	v_mad_co_u64_u32 v[2:3], null, s28, v8, 0
	v_mul_lo_u32 v11, s28, v9
	s_delay_alu instid0(VALU_DEP_2) | instskip(NEXT) | instid1(VALU_DEP_2)
	v_sub_co_u32 v2, vcc_lo, v6, v2
	v_add3_u32 v3, v3, v11, v10
	s_delay_alu instid0(VALU_DEP_1) | instskip(SKIP_1) | instid1(VALU_DEP_1)
	v_sub_nc_u32_e32 v10, v7, v3
	s_wait_alu 0xfffd
	v_subrev_co_ci_u32_e64 v10, s2, s29, v10, vcc_lo
	v_add_co_u32 v11, s2, v8, 2
	s_wait_alu 0xf1ff
	v_add_co_ci_u32_e64 v12, s2, 0, v9, s2
	v_sub_co_u32 v13, s2, v2, s28
	v_sub_co_ci_u32_e32 v3, vcc_lo, v7, v3, vcc_lo
	s_wait_alu 0xf1ff
	v_subrev_co_ci_u32_e64 v10, s2, 0, v10, s2
	s_delay_alu instid0(VALU_DEP_3) | instskip(NEXT) | instid1(VALU_DEP_3)
	v_cmp_le_u32_e32 vcc_lo, s28, v13
	v_cmp_eq_u32_e64 s2, s29, v3
	s_wait_alu 0xfffd
	v_cndmask_b32_e64 v13, 0, -1, vcc_lo
	v_cmp_le_u32_e32 vcc_lo, s29, v10
	s_wait_alu 0xfffd
	v_cndmask_b32_e64 v14, 0, -1, vcc_lo
	v_cmp_le_u32_e32 vcc_lo, s28, v2
	;; [unrolled: 3-line block ×3, first 2 shown]
	s_wait_alu 0xfffd
	v_cndmask_b32_e64 v15, 0, -1, vcc_lo
	v_cmp_eq_u32_e32 vcc_lo, s29, v10
	s_wait_alu 0xf1ff
	s_delay_alu instid0(VALU_DEP_2)
	v_cndmask_b32_e64 v2, v15, v2, s2
	s_wait_alu 0xfffd
	v_cndmask_b32_e32 v10, v14, v13, vcc_lo
	v_add_co_u32 v13, vcc_lo, v8, 1
	s_wait_alu 0xfffd
	v_add_co_ci_u32_e32 v14, vcc_lo, 0, v9, vcc_lo
	s_delay_alu instid0(VALU_DEP_3) | instskip(SKIP_1) | instid1(VALU_DEP_2)
	v_cmp_ne_u32_e32 vcc_lo, 0, v10
	s_wait_alu 0xfffd
	v_dual_cndmask_b32 v3, v14, v12 :: v_dual_cndmask_b32 v10, v13, v11
	v_cmp_ne_u32_e32 vcc_lo, 0, v2
	s_wait_alu 0xfffd
	s_delay_alu instid0(VALU_DEP_2)
	v_dual_cndmask_b32 v107, v9, v3 :: v_dual_cndmask_b32 v106, v8, v10
.LBB0_4:                                ;   in Loop: Header=BB0_2 Depth=1
	s_wait_alu 0xfffe
	s_and_not1_saveexec_b32 s2, s30
	s_cbranch_execz .LBB0_6
; %bb.5:                                ;   in Loop: Header=BB0_2 Depth=1
	v_cvt_f32_u32_e32 v2, s28
	s_sub_co_i32 s30, 0, s28
	v_mov_b32_e32 v107, v1
	s_delay_alu instid0(VALU_DEP_2) | instskip(NEXT) | instid1(TRANS32_DEP_1)
	v_rcp_iflag_f32_e32 v2, v2
	v_mul_f32_e32 v2, 0x4f7ffffe, v2
	s_delay_alu instid0(VALU_DEP_1) | instskip(SKIP_1) | instid1(VALU_DEP_1)
	v_cvt_u32_f32_e32 v2, v2
	s_wait_alu 0xfffe
	v_mul_lo_u32 v3, s30, v2
	s_delay_alu instid0(VALU_DEP_1) | instskip(NEXT) | instid1(VALU_DEP_1)
	v_mul_hi_u32 v3, v2, v3
	v_add_nc_u32_e32 v2, v2, v3
	s_delay_alu instid0(VALU_DEP_1) | instskip(NEXT) | instid1(VALU_DEP_1)
	v_mul_hi_u32 v2, v6, v2
	v_mul_lo_u32 v3, v2, s28
	v_add_nc_u32_e32 v8, 1, v2
	s_delay_alu instid0(VALU_DEP_2) | instskip(NEXT) | instid1(VALU_DEP_1)
	v_sub_nc_u32_e32 v3, v6, v3
	v_subrev_nc_u32_e32 v9, s28, v3
	v_cmp_le_u32_e32 vcc_lo, s28, v3
	s_wait_alu 0xfffd
	s_delay_alu instid0(VALU_DEP_2) | instskip(NEXT) | instid1(VALU_DEP_1)
	v_dual_cndmask_b32 v3, v3, v9 :: v_dual_cndmask_b32 v2, v2, v8
	v_cmp_le_u32_e32 vcc_lo, s28, v3
	s_delay_alu instid0(VALU_DEP_2) | instskip(SKIP_1) | instid1(VALU_DEP_1)
	v_add_nc_u32_e32 v8, 1, v2
	s_wait_alu 0xfffd
	v_cndmask_b32_e32 v106, v2, v8, vcc_lo
.LBB0_6:                                ;   in Loop: Header=BB0_2 Depth=1
	s_wait_alu 0xfffe
	s_or_b32 exec_lo, exec_lo, s2
	v_mul_lo_u32 v8, v107, s28
	s_delay_alu instid0(VALU_DEP_2)
	v_mul_lo_u32 v9, v106, s29
	s_load_b64 s[30:31], s[22:23], 0x0
	v_mad_co_u64_u32 v[2:3], null, v106, s28, 0
	s_load_b64 s[28:29], s[20:21], 0x0
	s_add_nc_u64 s[24:25], s[24:25], 1
	s_add_nc_u64 s[20:21], s[20:21], 8
	s_wait_alu 0xfffe
	v_cmp_ge_u64_e64 s2, s[24:25], s[10:11]
	s_add_nc_u64 s[22:23], s[22:23], 8
	s_add_nc_u64 s[26:27], s[26:27], 8
	v_add3_u32 v3, v3, v9, v8
	v_sub_co_u32 v2, vcc_lo, v6, v2
	s_wait_alu 0xfffd
	s_delay_alu instid0(VALU_DEP_2) | instskip(SKIP_2) | instid1(VALU_DEP_1)
	v_sub_co_ci_u32_e32 v3, vcc_lo, v7, v3, vcc_lo
	s_and_b32 vcc_lo, exec_lo, s2
	s_wait_kmcnt 0x0
	v_mul_lo_u32 v6, s30, v3
	v_mul_lo_u32 v7, s31, v2
	v_mad_co_u64_u32 v[4:5], null, s30, v2, v[4:5]
	v_mul_lo_u32 v3, s28, v3
	v_mul_lo_u32 v8, s29, v2
	v_mad_co_u64_u32 v[104:105], null, s28, v2, v[104:105]
	s_delay_alu instid0(VALU_DEP_4) | instskip(NEXT) | instid1(VALU_DEP_2)
	v_add3_u32 v5, v7, v5, v6
	v_add3_u32 v105, v8, v105, v3
	s_wait_alu 0xfffe
	s_cbranch_vccnz .LBB0_9
; %bb.7:                                ;   in Loop: Header=BB0_2 Depth=1
	v_dual_mov_b32 v6, v106 :: v_dual_mov_b32 v7, v107
	s_branch .LBB0_2
.LBB0_8:
	v_dual_mov_b32 v105, v5 :: v_dual_mov_b32 v104, v4
	s_delay_alu instid0(VALU_DEP_2)
	v_dual_mov_b32 v107, v7 :: v_dual_mov_b32 v106, v6
.LBB0_9:
	s_load_b64 s[0:1], s[0:1], 0x28
	v_mul_hi_u32 v1, 0x2d02d03, v0
	s_lshl_b64 s[10:11], s[10:11], 3
                                        ; implicit-def: $vgpr108
	s_wait_alu 0xfffe
	s_add_nc_u64 s[2:3], s[14:15], s[10:11]
	s_wait_kmcnt 0x0
	v_cmp_gt_u64_e32 vcc_lo, s[0:1], v[106:107]
	v_cmp_le_u64_e64 s0, s[0:1], v[106:107]
	s_delay_alu instid0(VALU_DEP_1)
	s_and_saveexec_b32 s1, s0
	s_wait_alu 0xfffe
	s_xor_b32 s0, exec_lo, s1
; %bb.10:
	v_mul_u32_u24_e32 v1, 0x5b, v1
                                        ; implicit-def: $vgpr4_vgpr5
	s_delay_alu instid0(VALU_DEP_1)
	v_sub_nc_u32_e32 v108, v0, v1
                                        ; implicit-def: $vgpr1
                                        ; implicit-def: $vgpr0
; %bb.11:
	s_wait_alu 0xfffe
	s_or_saveexec_b32 s1, s0
	s_load_b64 s[2:3], s[2:3], 0x0
                                        ; implicit-def: $vgpr2_vgpr3
                                        ; implicit-def: $vgpr10_vgpr11
                                        ; implicit-def: $vgpr18_vgpr19
                                        ; implicit-def: $vgpr34_vgpr35
                                        ; implicit-def: $vgpr50_vgpr51
                                        ; implicit-def: $vgpr26_vgpr27
                                        ; implicit-def: $vgpr22_vgpr23
                                        ; implicit-def: $vgpr14_vgpr15
                                        ; implicit-def: $vgpr30_vgpr31
                                        ; implicit-def: $vgpr38_vgpr39
                                        ; implicit-def: $vgpr42_vgpr43
                                        ; implicit-def: $vgpr46_vgpr47
                                        ; implicit-def: $vgpr6_vgpr7
                                        ; implicit-def: $vgpr54_vgpr55
                                        ; implicit-def: $vgpr58_vgpr59
                                        ; implicit-def: $vgpr62_vgpr63
                                        ; implicit-def: $vgpr82_vgpr83
                                        ; implicit-def: $vgpr94_vgpr95
                                        ; implicit-def: $vgpr78_vgpr79
                                        ; implicit-def: $vgpr74_vgpr75
                                        ; implicit-def: $vgpr70_vgpr71
                                        ; implicit-def: $vgpr86_vgpr87
                                        ; implicit-def: $vgpr98_vgpr99
                                        ; implicit-def: $vgpr102_vgpr103
                                        ; implicit-def: $vgpr90_vgpr91
                                        ; implicit-def: $vgpr66_vgpr67
	s_xor_b32 exec_lo, exec_lo, s1
	s_cbranch_execz .LBB0_15
; %bb.12:
	s_add_nc_u64 s[10:11], s[12:13], s[10:11]
	v_mul_u32_u24_e32 v1, 0x5b, v1
	s_load_b64 s[10:11], s[10:11], 0x0
	v_lshlrev_b64_e32 v[4:5], 4, v[4:5]
                                        ; implicit-def: $vgpr44_vgpr45
                                        ; implicit-def: $vgpr40_vgpr41
                                        ; implicit-def: $vgpr36_vgpr37
                                        ; implicit-def: $vgpr28_vgpr29
                                        ; implicit-def: $vgpr24_vgpr25
                                        ; implicit-def: $vgpr48_vgpr49
                                        ; implicit-def: $vgpr32_vgpr33
	s_delay_alu instid0(VALU_DEP_2) | instskip(NEXT) | instid1(VALU_DEP_1)
	v_sub_nc_u32_e32 v108, v0, v1
	v_mad_co_u64_u32 v[0:1], null, s18, v108, 0
	v_add_nc_u32_e32 v15, 0x126, v108
	v_add_nc_u32_e32 v19, 0x24c, v108
	s_delay_alu instid0(VALU_DEP_2) | instskip(SKIP_4) | instid1(VALU_DEP_3)
	v_mad_co_u64_u32 v[8:9], null, s18, v15, 0
	s_wait_kmcnt 0x0
	v_mad_co_u64_u32 v[2:3], null, s10, v106, 0
	v_mul_lo_u32 v17, s11, v106
	v_mul_lo_u32 v18, s10, v107
	v_mad_co_u64_u32 v[12:13], null, s19, v108, v[1:2]
	v_add_nc_u32_e32 v14, 0x93, v108
	s_delay_alu instid0(VALU_DEP_3) | instskip(SKIP_1) | instid1(VALU_DEP_2)
	v_add3_u32 v3, v3, v18, v17
	v_add_nc_u32_e32 v18, 0x5be, v108
	v_lshlrev_b64_e32 v[2:3], 4, v[2:3]
	v_mov_b32_e32 v1, v12
	v_mad_co_u64_u32 v[6:7], null, s18, v14, 0
	s_delay_alu instid0(VALU_DEP_3) | instskip(SKIP_1) | instid1(VALU_DEP_4)
	v_add_co_u32 v2, s0, s4, v2
	s_wait_alu 0xf1ff
	v_add_co_ci_u32_e64 v3, s0, s5, v3, s0
	s_delay_alu instid0(VALU_DEP_3)
	v_mad_co_u64_u32 v[12:13], null, s19, v14, v[7:8]
	v_add_nc_u32_e32 v16, 0x1b9, v108
	v_lshlrev_b64_e32 v[0:1], 4, v[0:1]
	v_add_co_u32 v2, s0, v2, v4
	s_wait_alu 0xf1ff
	v_add_co_ci_u32_e64 v3, s0, v3, v5, s0
	v_mov_b32_e32 v7, v12
	v_mad_co_u64_u32 v[10:11], null, s18, v16, 0
	v_add_co_u32 v0, s0, v2, v0
	s_delay_alu instid0(VALU_DEP_3) | instskip(SKIP_3) | instid1(VALU_DEP_4)
	v_lshlrev_b64_e32 v[4:5], 4, v[6:7]
	s_wait_alu 0xf1ff
	v_add_co_ci_u32_e64 v1, s0, v3, v1, s0
	s_mov_b32 s4, exec_lo
	v_mad_co_u64_u32 v[13:14], null, s19, v15, v[9:10]
	v_mad_co_u64_u32 v[6:7], null, s19, v16, v[11:12]
	v_add_co_u32 v4, s0, v2, v4
	v_mad_co_u64_u32 v[14:15], null, s18, v19, 0
	s_delay_alu instid0(VALU_DEP_4)
	v_dual_mov_b32 v9, v13 :: v_dual_add_nc_u32 v12, 0x2df, v108
	s_wait_alu 0xf1ff
	v_add_co_ci_u32_e64 v5, s0, v3, v5, s0
	s_clause 0x1
	global_load_b128 v[64:67], v[0:1], off
	global_load_b128 v[88:91], v[4:5], off
	v_dual_mov_b32 v11, v6 :: v_dual_add_nc_u32 v16, 0x372, v108
	v_mad_co_u64_u32 v[5:6], null, s18, v12, 0
	v_mov_b32_e32 v4, v15
	v_lshlrev_b64_e32 v[0:1], 4, v[8:9]
	s_delay_alu instid0(VALU_DEP_4) | instskip(NEXT) | instid1(VALU_DEP_3)
	v_lshlrev_b64_e32 v[7:8], 4, v[10:11]
	v_mad_co_u64_u32 v[9:10], null, s19, v19, v[4:5]
	s_delay_alu instid0(VALU_DEP_3)
	v_add_co_u32 v0, s0, v2, v0
	v_mov_b32_e32 v4, v6
	s_wait_alu 0xf1ff
	v_add_co_ci_u32_e64 v1, s0, v3, v1, s0
	v_mad_co_u64_u32 v[10:11], null, s18, v16, 0
	v_add_co_u32 v6, s0, v2, v7
	s_wait_alu 0xf1ff
	v_add_co_ci_u32_e64 v7, s0, v3, v8, s0
	v_mov_b32_e32 v15, v9
	v_mad_co_u64_u32 v[8:9], null, s19, v12, v[4:5]
	v_dual_mov_b32 v4, v11 :: v_dual_add_nc_u32 v17, 0x405, v108
	s_clause 0x1
	global_load_b128 v[100:103], v[0:1], off
	global_load_b128 v[96:99], v[6:7], off
	v_add_nc_u32_e32 v19, 0x651, v108
	v_mad_co_u64_u32 v[12:13], null, s18, v17, 0
	v_mov_b32_e32 v6, v8
	v_lshlrev_b64_e32 v[0:1], 4, v[14:15]
	v_mad_co_u64_u32 v[14:15], null, s19, v16, v[4:5]
	s_delay_alu instid0(VALU_DEP_3) | instskip(SKIP_1) | instid1(VALU_DEP_4)
	v_lshlrev_b64_e32 v[5:6], 4, v[5:6]
	v_mov_b32_e32 v4, v13
	v_add_co_u32 v0, s0, v2, v0
	s_wait_alu 0xf1ff
	v_add_co_ci_u32_e64 v1, s0, v3, v1, s0
	v_mov_b32_e32 v11, v14
	v_mad_co_u64_u32 v[7:8], null, s19, v17, v[4:5]
	v_add_nc_u32_e32 v14, 0x498, v108
	v_add_co_u32 v4, s0, v2, v5
	s_delay_alu instid0(VALU_DEP_4)
	v_lshlrev_b64_e32 v[8:9], 4, v[10:11]
	s_wait_alu 0xf1ff
	v_add_co_ci_u32_e64 v5, s0, v3, v6, s0
	v_mov_b32_e32 v13, v7
	v_mad_co_u64_u32 v[10:11], null, s18, v14, 0
	s_clause 0x1
	global_load_b128 v[84:87], v[0:1], off
	global_load_b128 v[68:71], v[4:5], off
	v_add_co_u32 v0, s0, v2, v8
	v_lshlrev_b64_e32 v[5:6], 4, v[12:13]
	s_wait_alu 0xf1ff
	v_add_co_ci_u32_e64 v1, s0, v3, v9, s0
	v_mov_b32_e32 v4, v11
	v_mad_co_u64_u32 v[12:13], null, s18, v18, 0
	s_delay_alu instid0(VALU_DEP_2)
	v_mad_co_u64_u32 v[7:8], null, s19, v14, v[4:5]
	v_add_nc_u32_e32 v16, 0x52b, v108
	v_add_co_u32 v4, s0, v2, v5
	s_wait_alu 0xf1ff
	v_add_co_ci_u32_e64 v5, s0, v3, v6, s0
	v_mad_co_u64_u32 v[14:15], null, s18, v19, 0
	v_mov_b32_e32 v11, v7
	v_mad_co_u64_u32 v[8:9], null, s18, v16, 0
	v_mov_b32_e32 v7, v13
	s_clause 0x1
	global_load_b128 v[72:75], v[0:1], off
	global_load_b128 v[76:79], v[4:5], off
	v_lshlrev_b64_e32 v[4:5], 4, v[10:11]
	v_mov_b32_e32 v6, v9
	s_delay_alu instid0(VALU_DEP_2) | instskip(SKIP_1) | instid1(VALU_DEP_3)
	v_add_co_u32 v4, s0, v2, v4
	s_wait_alu 0xf1ff
	v_add_co_ci_u32_e64 v5, s0, v3, v5, s0
	s_delay_alu instid0(VALU_DEP_3) | instskip(SKIP_1) | instid1(VALU_DEP_2)
	v_mad_co_u64_u32 v[16:17], null, s19, v16, v[6:7]
	v_mad_co_u64_u32 v[6:7], null, s19, v18, v[7:8]
	v_dual_mov_b32 v9, v16 :: v_dual_add_nc_u32 v20, 0x6e4, v108
	s_delay_alu instid0(VALU_DEP_2) | instskip(NEXT) | instid1(VALU_DEP_2)
	v_mov_b32_e32 v13, v6
	v_mad_co_u64_u32 v[17:18], null, s18, v20, 0
	v_mov_b32_e32 v0, v15
	s_delay_alu instid0(VALU_DEP_4) | instskip(NEXT) | instid1(VALU_DEP_2)
	v_lshlrev_b64_e32 v[6:7], 4, v[8:9]
	v_mad_co_u64_u32 v[0:1], null, s19, v19, v[0:1]
	s_delay_alu instid0(VALU_DEP_4) | instskip(NEXT) | instid1(VALU_DEP_1)
	v_mov_b32_e32 v1, v18
	v_mad_co_u64_u32 v[8:9], null, s19, v20, v[1:2]
	v_lshlrev_b64_e32 v[9:10], 4, v[12:13]
	s_delay_alu instid0(VALU_DEP_4)
	v_mov_b32_e32 v15, v0
	v_add_co_u32 v0, s0, v2, v6
	s_wait_alu 0xf1ff
	v_add_co_ci_u32_e64 v1, s0, v3, v7, s0
	v_mov_b32_e32 v18, v8
	v_lshlrev_b64_e32 v[6:7], 4, v[14:15]
	v_add_co_u32 v8, s0, v2, v9
	s_wait_alu 0xf1ff
	v_add_co_ci_u32_e64 v9, s0, v3, v10, s0
	v_lshlrev_b64_e32 v[10:11], 4, v[17:18]
	s_delay_alu instid0(VALU_DEP_4) | instskip(SKIP_2) | instid1(VALU_DEP_3)
	v_add_co_u32 v6, s0, v2, v6
	s_wait_alu 0xf1ff
	v_add_co_ci_u32_e64 v7, s0, v3, v7, s0
                                        ; implicit-def: $vgpr12_vgpr13
                                        ; implicit-def: $vgpr20_vgpr21
                                        ; implicit-def: $vgpr16_vgpr17
	v_add_co_u32 v10, s0, v2, v10
	s_wait_alu 0xf1ff
	v_add_co_ci_u32_e64 v11, s0, v3, v11, s0
	s_clause 0x4
	global_load_b128 v[92:95], v[4:5], off
	global_load_b128 v[80:83], v[0:1], off
	;; [unrolled: 1-line block ×5, first 2 shown]
                                        ; implicit-def: $vgpr4_vgpr5
                                        ; implicit-def: $vgpr8_vgpr9
                                        ; implicit-def: $vgpr0_vgpr1
	v_cmpx_gt_u32_e32 56, v108
	s_cbranch_execz .LBB0_14
; %bb.13:
	v_add_nc_u32_e32 v16, 0x214, v108
	v_add_nc_u32_e32 v15, 0x181, v108
	;; [unrolled: 1-line block ×4, first 2 shown]
	s_delay_alu instid0(VALU_DEP_4) | instskip(SKIP_2) | instid1(VALU_DEP_4)
	v_mad_co_u64_u32 v[10:11], null, s18, v16, 0
	v_add_nc_u32_e32 v6, 0x5b, v108
	v_mad_co_u64_u32 v[8:9], null, s18, v15, 0
	v_mad_co_u64_u32 v[48:49], null, s18, v109, 0
	s_delay_alu instid0(VALU_DEP_3) | instskip(NEXT) | instid1(VALU_DEP_1)
	v_mad_co_u64_u32 v[0:1], null, s18, v6, 0
	v_mad_co_u64_u32 v[6:7], null, s19, v6, v[1:2]
	v_dual_mov_b32 v7, v11 :: v_dual_add_nc_u32 v12, 0xee, v108
	s_delay_alu instid0(VALU_DEP_2) | instskip(NEXT) | instid1(VALU_DEP_2)
	v_mov_b32_e32 v1, v6
	v_mad_co_u64_u32 v[4:5], null, s18, v12, 0
	s_delay_alu instid0(VALU_DEP_2) | instskip(NEXT) | instid1(VALU_DEP_2)
	v_lshlrev_b64_e32 v[0:1], 4, v[0:1]
	v_mad_co_u64_u32 v[12:13], null, s19, v12, v[5:6]
	v_mov_b32_e32 v6, v9
	s_delay_alu instid0(VALU_DEP_3) | instskip(SKIP_1) | instid1(VALU_DEP_4)
	v_add_co_u32 v0, s0, v2, v0
	s_wait_alu 0xf1ff
	v_add_co_ci_u32_e64 v1, s0, v3, v1, s0
	s_delay_alu instid0(VALU_DEP_4) | instskip(SKIP_3) | instid1(VALU_DEP_4)
	v_mov_b32_e32 v5, v12
	v_mad_co_u64_u32 v[11:12], null, s19, v15, v[6:7]
	v_mad_co_u64_u32 v[15:16], null, s19, v16, v[7:8]
	v_add_nc_u32_e32 v18, 0x2a7, v108
	v_lshlrev_b64_e32 v[4:5], 4, v[4:5]
	s_delay_alu instid0(VALU_DEP_4) | instskip(NEXT) | instid1(VALU_DEP_3)
	v_mov_b32_e32 v9, v11
	v_mad_co_u64_u32 v[13:14], null, s18, v18, 0
	s_delay_alu instid0(VALU_DEP_3)
	v_add_co_u32 v16, s0, v2, v4
	v_mov_b32_e32 v11, v15
	s_wait_alu 0xf1ff
	v_add_co_ci_u32_e64 v17, s0, v3, v5, s0
	v_add_nc_u32_e32 v19, 0x33a, v108
	s_clause 0x1
	global_load_b128 v[4:7], v[0:1], off
	global_load_b128 v[44:47], v[16:17], off
	v_lshlrev_b64_e32 v[0:1], 4, v[8:9]
	v_mov_b32_e32 v8, v14
	v_lshlrev_b64_e32 v[9:10], 4, v[10:11]
	v_mad_co_u64_u32 v[15:16], null, s18, v19, 0
	s_delay_alu instid0(VALU_DEP_4) | instskip(NEXT) | instid1(VALU_DEP_3)
	v_add_co_u32 v0, s0, v2, v0
	v_mad_co_u64_u32 v[11:12], null, s19, v18, v[8:9]
	v_add_nc_u32_e32 v21, 0x3cd, v108
	s_wait_alu 0xf1ff
	v_add_co_ci_u32_e64 v1, s0, v3, v1, s0
	v_mov_b32_e32 v8, v16
	v_add_co_u32 v9, s0, v2, v9
	v_mov_b32_e32 v14, v11
	v_mad_co_u64_u32 v[17:18], null, s18, v21, 0
	s_delay_alu instid0(VALU_DEP_3) | instskip(SKIP_3) | instid1(VALU_DEP_4)
	v_mad_co_u64_u32 v[11:12], null, s19, v19, v[8:9]
	v_mad_co_u64_u32 v[19:20], null, s18, v22, 0
	s_wait_alu 0xf1ff
	v_add_co_ci_u32_e64 v10, s0, v3, v10, s0
	v_mov_b32_e32 v8, v18
	s_clause 0x1
	global_load_b128 v[40:43], v[0:1], off
	global_load_b128 v[36:39], v[9:10], off
	v_mov_b32_e32 v16, v11
	v_lshlrev_b64_e32 v[0:1], 4, v[13:14]
	v_mad_co_u64_u32 v[8:9], null, s19, v21, v[8:9]
	v_mov_b32_e32 v9, v20
	s_delay_alu instid0(VALU_DEP_4)
	v_lshlrev_b64_e32 v[10:11], 4, v[15:16]
	v_add_nc_u32_e32 v21, 0x4f3, v108
	v_add_co_u32 v0, s0, v2, v0
	s_wait_alu 0xf1ff
	v_add_co_ci_u32_e64 v1, s0, v3, v1, s0
	v_mov_b32_e32 v18, v8
	v_mad_co_u64_u32 v[8:9], null, s19, v22, v[9:10]
	v_add_co_u32 v9, s0, v2, v10
	s_wait_alu 0xf1ff
	v_add_co_ci_u32_e64 v10, s0, v3, v11, s0
	s_clause 0x1
	global_load_b128 v[28:31], v[0:1], off
	global_load_b128 v[12:15], v[9:10], off
	v_mov_b32_e32 v20, v8
	v_mad_co_u64_u32 v[32:33], null, s18, v21, 0
	v_lshlrev_b64_e32 v[16:17], 4, v[17:18]
	s_delay_alu instid0(VALU_DEP_3) | instskip(SKIP_2) | instid1(VALU_DEP_4)
	v_lshlrev_b64_e32 v[9:10], 4, v[19:20]
	v_add_nc_u32_e32 v20, 0x619, v108
	v_add_nc_u32_e32 v19, 0x586, v108
	v_add_co_u32 v0, s0, v2, v16
	s_delay_alu instid0(VALU_DEP_3) | instskip(SKIP_3) | instid1(VALU_DEP_3)
	v_mad_co_u64_u32 v[34:35], null, s18, v20, 0
	v_mov_b32_e32 v8, v33
	s_wait_alu 0xf1ff
	v_add_co_ci_u32_e64 v1, s0, v3, v17, s0
	v_mov_b32_e32 v11, v35
	s_delay_alu instid0(VALU_DEP_3) | instskip(SKIP_4) | instid1(VALU_DEP_4)
	v_mad_co_u64_u32 v[16:17], null, s19, v21, v[8:9]
	v_mad_co_u64_u32 v[17:18], null, s18, v19, 0
	v_add_co_u32 v8, s0, v2, v9
	s_wait_alu 0xf1ff
	v_add_co_ci_u32_e64 v9, s0, v3, v10, s0
	v_dual_mov_b32 v33, v16 :: v_dual_add_nc_u32 v16, 0x73f, v108
	s_delay_alu instid0(VALU_DEP_1) | instskip(SKIP_1) | instid1(VALU_DEP_1)
	v_mad_co_u64_u32 v[50:51], null, s18, v16, 0
	v_mov_b32_e32 v10, v18
	v_mad_co_u64_u32 v[18:19], null, s19, v19, v[10:11]
	s_wait_loadcnt 0x0
	v_mad_co_u64_u32 v[10:11], null, s19, v20, v[11:12]
	s_clause 0x1
	global_load_b128 v[20:23], v[0:1], off
	global_load_b128 v[24:27], v[8:9], off
	v_mov_b32_e32 v0, v49
	v_lshlrev_b64_e32 v[8:9], 4, v[32:33]
	s_delay_alu instid0(VALU_DEP_2)
	v_mad_co_u64_u32 v[0:1], null, s19, v109, v[0:1]
	v_mov_b32_e32 v1, v51
	v_mov_b32_e32 v35, v10
	v_lshlrev_b64_e32 v[10:11], 4, v[17:18]
	v_add_co_u32 v8, s0, v2, v8
	s_wait_alu 0xf1ff
	v_add_co_ci_u32_e64 v9, s0, v3, v9, s0
	v_mov_b32_e32 v49, v0
	v_mad_co_u64_u32 v[16:17], null, s19, v16, v[1:2]
	v_lshlrev_b64_e32 v[17:18], 4, v[34:35]
	v_add_co_u32 v0, s0, v2, v10
	s_wait_alu 0xf1ff
	v_add_co_ci_u32_e64 v1, s0, v3, v11, s0
	v_lshlrev_b64_e32 v[10:11], 4, v[48:49]
	v_mov_b32_e32 v51, v16
	v_add_co_u32 v16, s0, v2, v17
	s_wait_alu 0xf1ff
	v_add_co_ci_u32_e64 v17, s0, v3, v18, s0
	s_delay_alu instid0(VALU_DEP_3) | instskip(SKIP_3) | instid1(VALU_DEP_3)
	v_lshlrev_b64_e32 v[18:19], 4, v[50:51]
	v_add_co_u32 v10, s0, v2, v10
	s_wait_alu 0xf1ff
	v_add_co_ci_u32_e64 v11, s0, v3, v11, s0
	v_add_co_u32 v2, s0, v2, v18
	s_wait_alu 0xf1ff
	v_add_co_ci_u32_e64 v3, s0, v3, v19, s0
	s_clause 0x4
	global_load_b128 v[48:51], v[8:9], off
	global_load_b128 v[32:35], v[0:1], off
	;; [unrolled: 1-line block ×5, first 2 shown]
.LBB0_14:
	s_wait_alu 0xfffe
	s_or_b32 exec_lo, exec_lo, s4
.LBB0_15:
	s_delay_alu instid0(SALU_CYCLE_1)
	s_or_b32 exec_lo, exec_lo, s1
	s_wait_loadcnt 0xb
	v_add_f64_e32 v[109:110], v[88:89], v[64:65]
	s_wait_loadcnt 0x0
	v_add_f64_e64 v[111:112], v[90:91], -v[54:55]
	s_mov_b32 s46, 0x4267c47c
	s_mov_b32 s34, 0x42a4c3d2
	;; [unrolled: 1-line block ×10, first 2 shown]
	v_add_f64_e64 v[113:114], v[102:103], -v[58:59]
	v_add_f64_e32 v[115:116], v[52:53], v[88:89]
	s_mov_b32 s38, 0x66966769
	s_mov_b32 s39, 0xbfefc445
	;; [unrolled: 1-line block ×14, first 2 shown]
	s_wait_alu 0xfffe
	s_mov_b32 s24, s38
	s_mov_b32 s30, s46
	;; [unrolled: 1-line block ×4, first 2 shown]
	v_add_f64_e64 v[127:128], v[98:99], -v[62:63]
	v_add_f64_e32 v[129:130], v[56:57], v[100:101]
	s_mov_b32 s4, 0xebaa3ed8
	s_mov_b32 s5, 0x3fbedb7d
	;; [unrolled: 1-line block ×4, first 2 shown]
	v_add_f64_e32 v[109:110], v[100:101], v[109:110]
	v_mul_f64_e32 v[117:118], s[46:47], v[111:112]
	v_mul_f64_e32 v[119:120], s[34:35], v[111:112]
	;; [unrolled: 1-line block ×6, first 2 shown]
	v_add_f64_e64 v[153:154], v[86:87], -v[82:83]
	s_mov_b32 s41, 0x3fcea1e5
	s_mov_b32 s40, s28
	;; [unrolled: 1-line block ×4, first 2 shown]
	v_mul_f64_e32 v[131:132], s[34:35], v[113:114]
	v_mul_f64_e32 v[133:134], s[22:23], v[113:114]
	;; [unrolled: 1-line block ×4, first 2 shown]
	s_wait_alu 0xfffe
	v_mul_f64_e32 v[139:140], s[24:25], v[113:114]
	v_mul_f64_e32 v[113:114], s[30:31], v[113:114]
	v_cmp_gt_u32_e64 s0, 56, v108
	v_mul_f64_e32 v[155:156], s[38:39], v[127:128]
	v_mul_f64_e32 v[157:158], s[28:29], v[127:128]
	;; [unrolled: 1-line block ×6, first 2 shown]
	v_add_f64_e32 v[109:110], v[96:97], v[109:110]
	v_fma_f64 v[141:142], v[115:116], s[10:11], v[117:118]
	v_fma_f64 v[143:144], v[115:116], s[12:13], v[119:120]
	v_fma_f64 v[119:120], v[115:116], s[12:13], -v[119:120]
	v_fma_f64 v[145:146], v[115:116], s[14:15], v[121:122]
	v_fma_f64 v[121:122], v[115:116], s[14:15], -v[121:122]
	v_fma_f64 v[147:148], v[115:116], s[18:19], v[123:124]
	v_fma_f64 v[149:150], v[115:116], s[20:21], v[125:126]
	v_fma_f64 v[125:126], v[115:116], s[20:21], -v[125:126]
	v_fma_f64 v[123:124], v[115:116], s[18:19], -v[123:124]
	;; [unrolled: 1-line block ×3, first 2 shown]
	v_fma_f64 v[111:112], v[115:116], s[4:5], v[111:112]
	v_fma_f64 v[115:116], v[115:116], s[10:11], -v[117:118]
	v_add_f64_e32 v[117:118], v[60:61], v[96:97]
	v_fma_f64 v[165:166], v[129:130], s[12:13], v[131:132]
	v_fma_f64 v[131:132], v[129:130], s[12:13], -v[131:132]
	v_fma_f64 v[167:168], v[129:130], s[14:15], v[133:134]
	v_fma_f64 v[133:134], v[129:130], s[14:15], -v[133:134]
	;; [unrolled: 2-line block ×6, first 2 shown]
	v_mul_f64_e32 v[177:178], s[22:23], v[153:154]
	v_mul_f64_e32 v[179:180], s[42:43], v[153:154]
	;; [unrolled: 1-line block ×6, first 2 shown]
	v_add_f64_e32 v[109:110], v[84:85], v[109:110]
	v_add_f64_e32 v[129:130], v[64:65], v[141:142]
	;; [unrolled: 1-line block ×14, first 2 shown]
	v_add_f64_e64 v[151:152], v[70:71], -v[94:95]
	v_fma_f64 v[187:188], v[117:118], s[4:5], v[155:156]
	v_fma_f64 v[155:156], v[117:118], s[4:5], -v[155:156]
	v_fma_f64 v[189:190], v[117:118], s[20:21], v[157:158]
	v_fma_f64 v[157:158], v[117:118], s[20:21], -v[157:158]
	;; [unrolled: 2-line block ×6, first 2 shown]
	v_add_f64_e32 v[109:110], v[68:69], v[109:110]
	v_add_f64_e32 v[127:128], v[165:166], v[129:130]
	;; [unrolled: 1-line block ×14, first 2 shown]
	v_add_f64_e64 v[135:136], v[74:75], -v[78:79]
	v_mul_f64_e32 v[139:140], s[26:27], v[151:152]
	v_mul_f64_e32 v[143:144], s[24:25], v[151:152]
	v_mul_f64_e32 v[147:148], s[40:41], v[151:152]
	v_mul_f64_e32 v[149:150], s[30:31], v[151:152]
	v_fma_f64 v[165:166], v[115:116], s[14:15], v[177:178]
	v_fma_f64 v[167:168], v[115:116], s[14:15], -v[177:178]
	v_fma_f64 v[169:170], v[115:116], s[18:19], v[179:180]
	v_fma_f64 v[173:174], v[115:116], s[10:11], v[181:182]
	v_fma_f64 v[175:176], v[115:116], s[10:11], -v[181:182]
	v_fma_f64 v[177:178], v[115:116], s[4:5], v[183:184]
	v_fma_f64 v[181:182], v[115:116], s[20:21], v[185:186]
	v_mul_f64_e32 v[145:146], s[34:35], v[151:152]
	v_mul_f64_e32 v[151:152], s[22:23], v[151:152]
	v_fma_f64 v[171:172], v[115:116], s[18:19], -v[179:180]
	v_fma_f64 v[179:180], v[115:116], s[4:5], -v[183:184]
	;; [unrolled: 1-line block ×3, first 2 shown]
	v_fma_f64 v[185:186], v[115:116], s[12:13], v[153:154]
	v_fma_f64 v[115:116], v[115:116], s[12:13], -v[153:154]
	v_add_f64_e32 v[109:110], v[72:73], v[109:110]
	v_add_f64_e32 v[127:128], v[187:188], v[127:128]
	;; [unrolled: 1-line block ×14, first 2 shown]
	v_mul_f64_e32 v[153:154], s[28:29], v[135:136]
	v_mul_f64_e32 v[155:156], s[30:31], v[135:136]
	;; [unrolled: 1-line block ×6, first 2 shown]
	v_fma_f64 v[163:164], v[131:132], s[18:19], v[139:140]
	v_fma_f64 v[187:188], v[131:132], s[4:5], v[143:144]
	;; [unrolled: 1-line block ×4, first 2 shown]
	v_fma_f64 v[139:140], v[131:132], s[18:19], -v[139:140]
	v_fma_f64 v[143:144], v[131:132], s[4:5], -v[143:144]
	v_fma_f64 v[189:190], v[131:132], s[12:13], v[145:146]
	v_fma_f64 v[145:146], v[131:132], s[12:13], -v[145:146]
	v_fma_f64 v[147:148], v[131:132], s[20:21], -v[147:148]
	;; [unrolled: 1-line block ×3, first 2 shown]
	v_fma_f64 v[195:196], v[131:132], s[14:15], v[151:152]
	v_fma_f64 v[131:132], v[131:132], s[14:15], -v[151:152]
	v_add_f64_e32 v[109:110], v[76:77], v[109:110]
	v_add_f64_e32 v[127:128], v[165:166], v[127:128]
	;; [unrolled: 1-line block ×13, first 2 shown]
	v_fma_f64 v[123:124], v[125:126], s[20:21], v[153:154]
	v_fma_f64 v[151:152], v[125:126], s[20:21], -v[153:154]
	v_fma_f64 v[153:154], v[125:126], s[10:11], v[155:156]
	v_fma_f64 v[155:156], v[125:126], s[10:11], -v[155:156]
	;; [unrolled: 2-line block ×6, first 2 shown]
	v_add_f64_e32 v[109:110], v[92:93], v[109:110]
	v_add_f64_e32 v[127:128], v[163:164], v[127:128]
	;; [unrolled: 1-line block ×27, first 2 shown]
	s_delay_alu instid0(VALU_DEP_1) | instskip(NEXT) | instid1(VALU_DEP_1)
	v_add_f64_e32 v[109:110], v[56:57], v[109:110]
	v_add_f64_e32 v[125:126], v[52:53], v[109:110]
	v_mad_u32_u24 v110, 0x68, v108, 0
	ds_store_2addr_b64 v110, v[129:130], v[131:132] offset0:4 offset1:5
	ds_store_2addr_b64 v110, v[133:134], v[113:114] offset0:6 offset1:7
	;; [unrolled: 1-line block ×5, first 2 shown]
	ds_store_2addr_b64 v110, v[125:126], v[123:124] offset1:1
	ds_store_b64 v110, v[64:65] offset:96
	s_and_saveexec_b32 s1, s0
	s_cbranch_execz .LBB0_17
; %bb.16:
	v_add_f64_e32 v[64:65], v[44:45], v[4:5]
	v_add_f64_e32 v[111:112], v[0:1], v[44:45]
	;; [unrolled: 1-line block ×3, first 2 shown]
	v_add_f64_e64 v[115:116], v[46:47], -v[2:3]
	v_add_f64_e32 v[127:128], v[16:17], v[36:37]
	v_add_f64_e64 v[129:130], v[42:43], -v[10:11]
	v_add_f64_e64 v[153:154], v[38:39], -v[18:19]
	v_add_nc_u32_e32 v109, 0x24f8, v110
	v_add_f64_e32 v[64:65], v[40:41], v[64:65]
	v_mul_f64_e32 v[117:118], s[20:21], v[111:112]
	v_mul_f64_e32 v[119:120], s[18:19], v[111:112]
	;; [unrolled: 1-line block ×18, first 2 shown]
	v_add_f64_e32 v[64:65], v[36:37], v[64:65]
	v_fma_f64 v[141:142], v[115:116], s[40:41], v[117:118]
	v_fma_f64 v[117:118], v[115:116], s[28:29], v[117:118]
	;; [unrolled: 1-line block ×12, first 2 shown]
	v_add_f64_e32 v[115:116], v[32:33], v[28:29]
	v_fma_f64 v[165:166], v[129:130], s[46:47], v[131:132]
	v_fma_f64 v[131:132], v[129:130], s[30:31], v[131:132]
	;; [unrolled: 1-line block ×24, first 2 shown]
	v_add_f64_e32 v[64:65], v[28:29], v[64:65]
	v_add_f64_e32 v[129:130], v[4:5], v[141:142]
	;; [unrolled: 1-line block ×14, first 2 shown]
	v_add_f64_e64 v[151:152], v[30:31], -v[34:35]
	v_mul_f64_e32 v[177:178], s[12:13], v[115:116]
	v_mul_f64_e32 v[179:180], s[20:21], v[115:116]
	;; [unrolled: 1-line block ×6, first 2 shown]
	v_add_f64_e32 v[64:65], v[12:13], v[64:65]
	v_add_f64_e32 v[129:130], v[165:166], v[129:130]
	;; [unrolled: 1-line block ×14, first 2 shown]
	v_add_f64_e64 v[141:142], v[14:15], -v[50:51]
	v_mul_f64_e32 v[143:144], s[14:15], v[111:112]
	v_mul_f64_e32 v[145:146], s[10:11], v[111:112]
	;; [unrolled: 1-line block ×5, first 2 shown]
	v_fma_f64 v[165:166], v[151:152], s[34:35], v[177:178]
	v_fma_f64 v[167:168], v[151:152], s[36:37], v[177:178]
	;; [unrolled: 1-line block ×10, first 2 shown]
	v_mul_f64_e32 v[111:112], s[18:19], v[111:112]
	v_fma_f64 v[185:186], v[151:152], s[44:45], v[115:116]
	v_fma_f64 v[115:116], v[151:152], s[22:23], v[115:116]
	v_add_f64_e32 v[64:65], v[20:21], v[64:65]
	v_add_f64_e32 v[129:130], v[187:188], v[129:130]
	;; [unrolled: 1-line block ×13, first 2 shown]
	v_add_f64_e64 v[127:128], v[22:23], -v[26:27]
	v_mul_f64_e32 v[151:152], s[4:5], v[135:136]
	v_mul_f64_e32 v[155:156], s[14:15], v[135:136]
	v_mul_f64_e32 v[157:158], s[12:13], v[135:136]
	v_mul_f64_e32 v[159:160], s[18:19], v[135:136]
	v_mul_f64_e32 v[161:162], s[10:11], v[135:136]
	v_mul_f64_e32 v[135:136], s[20:21], v[135:136]
	v_fma_f64 v[163:164], v[141:142], s[44:45], v[143:144]
	v_fma_f64 v[143:144], v[141:142], s[22:23], v[143:144]
	;; [unrolled: 1-line block ×12, first 2 shown]
	v_add_f64_e32 v[64:65], v[24:25], v[64:65]
	v_add_f64_e32 v[129:130], v[165:166], v[129:130]
	;; [unrolled: 1-line block ×13, first 2 shown]
	v_fma_f64 v[115:116], v[127:128], s[38:39], v[151:152]
	v_fma_f64 v[141:142], v[127:128], s[24:25], v[151:152]
	;; [unrolled: 1-line block ×12, first 2 shown]
	v_add_f64_e32 v[64:65], v[48:49], v[64:65]
	v_add_f64_e32 v[129:130], v[163:164], v[129:130]
	;; [unrolled: 1-line block ×26, first 2 shown]
	v_add_nc_u32_e32 v127, 0x2508, v110
	v_add_nc_u32_e32 v128, 0x2518, v110
	;; [unrolled: 1-line block ×5, first 2 shown]
	v_add_f64_e32 v[64:65], v[16:17], v[64:65]
	s_delay_alu instid0(VALU_DEP_1) | instskip(NEXT) | instid1(VALU_DEP_1)
	v_add_f64_e32 v[64:65], v[8:9], v[64:65]
	v_add_f64_e32 v[64:65], v[0:1], v[64:65]
	ds_store_2addr_b64 v127, v[133:134], v[131:132] offset1:1
	ds_store_2addr_b64 v128, v[121:122], v[119:120] offset1:1
	;; [unrolled: 1-line block ×6, first 2 shown]
	ds_store_b64 v110, v[4:5] offset:9560
.LBB0_17:
	s_wait_alu 0xfffe
	s_or_b32 exec_lo, exec_lo, s1
	v_add_f64_e32 v[4:5], v[90:91], v[66:67]
	v_add_f64_e64 v[52:53], v[88:89], -v[52:53]
	v_add_f64_e64 v[56:57], v[100:101], -v[56:57]
	v_add_f64_e32 v[64:65], v[54:55], v[90:91]
	v_add_f64_e64 v[60:61], v[96:97], -v[60:61]
	v_add_f64_e32 v[96:97], v[58:59], v[102:103]
	v_add_f64_e64 v[80:81], v[84:85], -v[80:81]
	v_add_f64_e64 v[68:69], v[68:69], -v[92:93]
	;; [unrolled: 1-line block ×3, first 2 shown]
	v_mad_i32_i24 v109, 0xffffffa0, v108, v110
	global_wb scope:SCOPE_SE
	s_wait_dscnt 0x0
	s_wait_kmcnt 0x0
	s_barrier_signal -1
	s_barrier_wait -1
	global_inv scope:SCOPE_SE
	v_add_f64_e32 v[4:5], v[102:103], v[4:5]
	v_mul_f64_e32 v[88:89], s[46:47], v[52:53]
	v_mul_f64_e32 v[90:91], s[34:35], v[52:53]
	;; [unrolled: 1-line block ×20, first 2 shown]
	v_add_f64_e32 v[4:5], v[98:99], v[4:5]
	v_fma_f64 v[123:124], v[64:65], s[10:11], -v[88:89]
	v_fma_f64 v[125:126], v[64:65], s[12:13], -v[90:91]
	v_fma_f64 v[90:91], v[64:65], s[12:13], v[90:91]
	v_fma_f64 v[127:128], v[64:65], s[14:15], -v[100:101]
	v_fma_f64 v[100:101], v[64:65], s[14:15], v[100:101]
	v_fma_f64 v[129:130], v[64:65], s[18:19], -v[111:112]
	v_fma_f64 v[131:132], v[64:65], s[20:21], -v[113:114]
	v_fma_f64 v[113:114], v[64:65], s[20:21], v[113:114]
	v_fma_f64 v[111:112], v[64:65], s[18:19], v[111:112]
	;; [unrolled: 1-line block ×3, first 2 shown]
	v_fma_f64 v[52:53], v[64:65], s[4:5], -v[52:53]
	v_fma_f64 v[64:65], v[64:65], s[10:11], v[88:89]
	v_add_f64_e32 v[88:89], v[62:63], v[98:99]
	v_mul_f64_e32 v[98:99], s[28:29], v[60:61]
	v_mul_f64_e32 v[60:61], s[26:27], v[60:61]
	v_fma_f64 v[141:142], v[96:97], s[12:13], -v[102:103]
	v_fma_f64 v[102:103], v[96:97], s[12:13], v[102:103]
	v_fma_f64 v[143:144], v[96:97], s[14:15], -v[115:116]
	v_fma_f64 v[115:116], v[96:97], s[14:15], v[115:116]
	v_fma_f64 v[145:146], v[96:97], s[20:21], -v[117:118]
	v_fma_f64 v[117:118], v[96:97], s[20:21], v[117:118]
	v_fma_f64 v[147:148], v[96:97], s[18:19], -v[119:120]
	v_fma_f64 v[119:120], v[96:97], s[18:19], v[119:120]
	v_fma_f64 v[149:150], v[96:97], s[4:5], -v[121:122]
	v_fma_f64 v[121:122], v[96:97], s[4:5], v[121:122]
	v_fma_f64 v[151:152], v[96:97], s[10:11], -v[56:57]
	v_fma_f64 v[56:57], v[96:97], s[10:11], v[56:57]
	v_add_f64_e32 v[4:5], v[86:87], v[4:5]
	v_add_f64_e32 v[96:97], v[66:67], v[123:124]
	v_add_f64_e32 v[123:124], v[66:67], v[125:126]
	v_add_f64_e32 v[90:91], v[66:67], v[90:91]
	v_add_f64_e32 v[125:126], v[66:67], v[127:128]
	v_add_f64_e32 v[100:101], v[66:67], v[100:101]
	v_add_f64_e32 v[127:128], v[66:67], v[129:130]
	v_add_f64_e32 v[129:130], v[66:67], v[131:132]
	v_add_f64_e32 v[113:114], v[66:67], v[113:114]
	v_add_f64_e32 v[111:112], v[66:67], v[111:112]
	v_add_f64_e32 v[131:132], v[66:67], v[133:134]
	v_add_f64_e32 v[52:53], v[66:67], v[52:53]
	v_add_f64_e32 v[64:65], v[66:67], v[64:65]
	v_add_f64_e32 v[66:67], v[82:83], v[86:87]
	v_mul_f64_e32 v[86:87], s[22:23], v[80:81]
	v_mul_f64_e32 v[133:134], s[30:31], v[80:81]
	v_mul_f64_e32 v[80:81], s[36:37], v[80:81]
	v_fma_f64 v[157:158], v[88:89], s[4:5], -v[84:85]
	v_fma_f64 v[84:85], v[88:89], s[4:5], v[84:85]
	v_fma_f64 v[159:160], v[88:89], s[20:21], -v[98:99]
	v_fma_f64 v[98:99], v[88:89], s[20:21], v[98:99]
	v_fma_f64 v[161:162], v[88:89], s[14:15], -v[135:136]
	v_fma_f64 v[135:136], v[88:89], s[14:15], v[135:136]
	v_fma_f64 v[163:164], v[88:89], s[10:11], -v[137:138]
	v_fma_f64 v[137:138], v[88:89], s[10:11], v[137:138]
	v_fma_f64 v[165:166], v[88:89], s[12:13], -v[139:140]
	v_fma_f64 v[139:140], v[88:89], s[12:13], v[139:140]
	v_fma_f64 v[167:168], v[88:89], s[18:19], -v[60:61]
	v_fma_f64 v[60:61], v[88:89], s[18:19], v[60:61]
	v_add_f64_e32 v[4:5], v[70:71], v[4:5]
	v_add_f64_e32 v[88:89], v[141:142], v[96:97]
	v_add_f64_e32 v[96:97], v[143:144], v[123:124]
	v_add_f64_e32 v[90:91], v[115:116], v[90:91]
	v_add_f64_e32 v[115:116], v[147:148], v[125:126]
	v_add_f64_e32 v[100:101], v[119:120], v[100:101]
	v_add_f64_e32 v[119:120], v[149:150], v[127:128]
	v_add_f64_e32 v[123:124], v[151:152], v[129:130]
	v_add_f64_e32 v[56:57], v[56:57], v[113:114]
	v_add_f64_e32 v[111:112], v[121:122], v[111:112]
	v_add_f64_e32 v[113:114], v[117:118], v[131:132]
	v_add_f64_e32 v[52:53], v[145:146], v[52:53]
	v_add_f64_e32 v[64:65], v[102:103], v[64:65]
	v_add_f64_e32 v[70:71], v[94:95], v[70:71]
	v_mul_f64_e32 v[102:103], s[34:35], v[68:69]
	;; [unrolled: 29-line block ×3, first 2 shown]
	v_mul_f64_e32 v[113:114], s[36:37], v[72:73]
	v_mul_f64_e32 v[119:120], s[22:23], v[72:73]
	v_fma_f64 v[123:124], v[70:71], s[18:19], -v[76:77]
	v_fma_f64 v[76:77], v[70:71], s[18:19], v[76:77]
	v_fma_f64 v[137:138], v[70:71], s[12:13], -v[102:103]
	v_fma_f64 v[102:103], v[70:71], s[12:13], v[102:103]
	;; [unrolled: 2-line block ×4, first 2 shown]
	v_add_f64_e32 v[4:5], v[78:79], v[4:5]
	v_mul_f64_e32 v[78:79], s[28:29], v[72:73]
	v_add_f64_e32 v[56:57], v[66:67], v[56:57]
	v_add_f64_e32 v[60:61], v[145:146], v[60:61]
	;; [unrolled: 1-line block ×4, first 2 shown]
	v_fma_f64 v[111:112], v[74:75], s[12:13], -v[113:114]
	v_fma_f64 v[113:114], v[74:75], s[12:13], v[113:114]
	v_add_f64_e32 v[4:5], v[94:95], v[4:5]
	v_mul_f64_e32 v[94:95], s[24:25], v[68:69]
	v_mul_f64_e32 v[68:69], s[22:23], v[68:69]
	v_add_f64_e32 v[60:61], v[121:122], v[60:61]
	v_add_f64_e32 v[66:67], v[102:103], v[66:67]
	;; [unrolled: 1-line block ×3, first 2 shown]
	v_add_nc_u32_e32 v102, 0x800, v109
	v_add_nc_u32_e32 v103, 0x2c00, v109
	v_add_f64_e32 v[4:5], v[82:83], v[4:5]
	v_mul_f64_e32 v[82:83], s[30:31], v[72:73]
	v_mul_f64_e32 v[72:73], s[24:25], v[72:73]
	v_fma_f64 v[135:136], v[70:71], s[4:5], -v[94:95]
	v_fma_f64 v[94:95], v[70:71], s[4:5], v[94:95]
	v_fma_f64 v[151:152], v[70:71], s[14:15], -v[68:69]
	v_fma_f64 v[68:69], v[70:71], s[14:15], v[68:69]
	v_add_f64_e32 v[70:71], v[125:126], v[80:81]
	v_add_f64_e32 v[80:81], v[127:128], v[88:89]
	v_add_f64_e32 v[88:89], v[92:93], v[90:91]
	v_add_f64_e32 v[90:91], v[133:134], v[96:97]
	v_add_f64_e32 v[92:93], v[141:142], v[98:99]
	v_add_f64_e32 v[96:97], v[143:144], v[100:101]
	v_add_f64_e32 v[98:99], v[147:148], v[115:116]
	v_fma_f64 v[100:101], v[74:75], s[18:19], -v[84:85]
	v_fma_f64 v[84:85], v[74:75], s[18:19], v[84:85]
	v_fma_f64 v[115:116], v[74:75], s[14:15], -v[119:120]
	v_fma_f64 v[119:120], v[74:75], s[14:15], v[119:120]
	v_add_f64_e32 v[4:5], v[62:63], v[4:5]
	v_add_f64_e32 v[62:63], v[86:87], v[64:65]
	v_fma_f64 v[64:65], v[74:75], s[20:21], -v[78:79]
	v_fma_f64 v[78:79], v[74:75], s[20:21], v[78:79]
	v_fma_f64 v[86:87], v[74:75], s[10:11], -v[82:83]
	v_fma_f64 v[82:83], v[74:75], s[10:11], v[82:83]
	;; [unrolled: 2-line block ×3, first 2 shown]
	v_add_f64_e32 v[74:75], v[135:136], v[80:81]
	v_add_f64_e32 v[80:81], v[94:95], v[88:89]
	;; [unrolled: 1-line block ×11, first 2 shown]
	v_add_nc_u32_e32 v96, 0x1000, v109
	v_add_nc_u32_e32 v97, 0x1400, v109
	;; [unrolled: 1-line block ×6, first 2 shown]
	v_add_f64_e32 v[4:5], v[58:59], v[4:5]
	v_add_f64_e32 v[62:63], v[76:77], v[62:63]
	ds_load_2addr_b64 v[56:59], v109 offset1:91
	v_add_f64_e32 v[121:122], v[86:87], v[74:75]
	v_add_f64_e32 v[123:124], v[82:83], v[80:81]
	;; [unrolled: 1-line block ×8, first 2 shown]
	v_add_nc_u32_e32 v95, 0x400, v109
	v_add_nc_u32_e32 v94, 0x5b, v108
	v_add_f64_e32 v[4:5], v[54:55], v[4:5]
	v_add_f64_e32 v[133:134], v[78:79], v[62:63]
	ds_load_b64 v[92:93], v109 offset:14560
	ds_load_2addr_b64 v[52:55], v95 offset0:54 offset1:145
	ds_load_2addr_b64 v[84:87], v96 offset0:34 offset1:125
	ds_load_2addr_b64 v[72:75], v97 offset0:88 offset1:179
	ds_load_2addr_b64 v[64:67], v98 offset0:68 offset1:159
	ds_load_2addr_b64 v[60:63], v101 offset0:122 offset1:213
	ds_load_2addr_b64 v[88:91], v100 offset0:102 offset1:193
	ds_load_2addr_b64 v[80:83], v102 offset0:108 offset1:199
	ds_load_2addr_b64 v[68:71], v99 offset0:142 offset1:233
	ds_load_2addr_b64 v[76:79], v103 offset0:48 offset1:139
	global_wb scope:SCOPE_SE
	s_wait_dscnt 0x0
	s_barrier_signal -1
	s_barrier_wait -1
	global_inv scope:SCOPE_SE
	ds_store_2addr_b64 v110, v[111:112], v[115:116] offset0:4 offset1:5
	ds_store_2addr_b64 v110, v[125:126], v[127:128] offset0:6 offset1:7
	;; [unrolled: 1-line block ×4, first 2 shown]
	ds_store_2addr_b64 v110, v[4:5], v[117:118] offset1:1
	ds_store_2addr_b64 v110, v[121:122], v[131:132] offset0:2 offset1:3
	ds_store_b64 v110, v[133:134] offset:96
	s_and_saveexec_b32 s33, s0
	s_cbranch_execz .LBB0_19
; %bb.18:
	v_add_f64_e32 v[4:5], v[46:47], v[6:7]
	v_add_f64_e64 v[0:1], v[44:45], -v[0:1]
	s_mov_b32 s30, 0x42a4c3d2
	s_mov_b32 s14, 0x2ef20147
	;; [unrolled: 1-line block ×10, first 2 shown]
	v_add_f64_e64 v[8:9], v[40:41], -v[8:9]
	v_add_f64_e32 v[40:41], v[2:3], v[46:47]
	s_mov_b32 s34, 0x66966769
	s_mov_b32 s35, 0xbfefc445
	s_mov_b32 s0, 0xe00740e9
	s_mov_b32 s10, 0x1ea71119
	s_mov_b32 s18, 0xb2365da1
	s_mov_b32 s20, 0xd0032e0c
	s_mov_b32 s1, 0x3fec55a7
	s_mov_b32 s11, 0x3fe22d96
	s_mov_b32 s19, 0xbfd6b1d8
	s_mov_b32 s21, 0xbfe7f3cc
	s_mov_b32 s37, 0x3fe5384d
	s_mov_b32 s29, 0x3fefc445
	s_wait_alu 0xfffe
	s_mov_b32 s36, s22
	s_mov_b32 s28, s34
	;; [unrolled: 1-line block ×4, first 2 shown]
	v_add_f64_e64 v[16:17], v[36:37], -v[16:17]
	v_add_f64_e32 v[36:37], v[10:11], v[42:43]
	s_mov_b32 s39, 0x3fedeba7
	s_mov_b32 s38, s14
	v_add_f64_e64 v[28:29], v[28:29], -v[32:33]
	s_mov_b32 s40, s26
	v_add_f64_e64 v[12:13], v[12:13], -v[48:49]
	v_add_f64_e64 v[20:21], v[20:21], -v[24:25]
	v_add_f64_e32 v[4:5], v[42:43], v[4:5]
	v_mul_f64_e32 v[44:45], s[12:13], v[0:1]
	v_mul_f64_e32 v[46:47], s[30:31], v[0:1]
	;; [unrolled: 1-line block ×6, first 2 shown]
	s_mov_b32 s13, 0x3fddbe06
	v_mul_f64_e32 v[42:43], s[30:31], v[8:9]
	v_mul_f64_e32 v[116:117], s[14:15], v[8:9]
	;; [unrolled: 1-line block ×3, first 2 shown]
	s_wait_alu 0xfffe
	v_mul_f64_e32 v[120:121], s[36:37], v[8:9]
	v_mul_f64_e32 v[122:123], s[28:29], v[8:9]
	;; [unrolled: 1-line block ×7, first 2 shown]
	s_mov_b32 s39, 0x3fea55e2
	s_mov_b32 s38, s30
	v_mul_f64_e32 v[48:49], s[36:37], v[28:29]
	v_mul_f64_e32 v[154:155], s[40:41], v[28:29]
	v_add_f64_e32 v[4:5], v[38:39], v[4:5]
	v_fma_f64 v[124:125], v[40:41], s[0:1], -v[44:45]
	v_fma_f64 v[126:127], v[40:41], s[10:11], -v[46:47]
	v_fma_f64 v[46:47], v[40:41], s[10:11], v[46:47]
	v_fma_f64 v[128:129], v[40:41], s[18:19], -v[110:111]
	v_fma_f64 v[110:111], v[40:41], s[18:19], v[110:111]
	v_fma_f64 v[130:131], v[40:41], s[20:21], -v[112:113]
	v_fma_f64 v[132:133], v[40:41], s[24:25], -v[114:115]
	v_fma_f64 v[114:115], v[40:41], s[24:25], v[114:115]
	v_fma_f64 v[112:113], v[40:41], s[20:21], v[112:113]
	;; [unrolled: 1-line block ×3, first 2 shown]
	v_fma_f64 v[0:1], v[40:41], s[4:5], -v[0:1]
	v_fma_f64 v[40:41], v[40:41], s[0:1], v[44:45]
	v_add_f64_e32 v[38:39], v[18:19], v[38:39]
	v_mul_f64_e32 v[44:45], s[26:27], v[16:17]
	v_mul_f64_e32 v[16:17], s[12:13], v[16:17]
	v_fma_f64 v[142:143], v[36:37], s[10:11], -v[42:43]
	v_fma_f64 v[42:43], v[36:37], s[10:11], v[42:43]
	v_fma_f64 v[144:145], v[36:37], s[18:19], -v[116:117]
	v_fma_f64 v[116:117], v[36:37], s[18:19], v[116:117]
	;; [unrolled: 2-line block ×6, first 2 shown]
	s_wait_alu 0xfffe
	v_mul_f64_e32 v[156:157], s[38:39], v[28:29]
	v_mul_f64_e32 v[24:25], s[22:23], v[12:13]
	v_add_f64_e32 v[4:5], v[30:31], v[4:5]
	v_add_f64_e32 v[36:37], v[6:7], v[124:125]
	;; [unrolled: 1-line block ×14, first 2 shown]
	v_mul_f64_e32 v[40:41], s[14:15], v[28:29]
	v_mul_f64_e32 v[134:135], s[34:35], v[28:29]
	;; [unrolled: 1-line block ×3, first 2 shown]
	v_fma_f64 v[158:159], v[38:39], s[4:5], -v[32:33]
	v_fma_f64 v[32:33], v[38:39], s[4:5], v[32:33]
	v_fma_f64 v[160:161], v[38:39], s[24:25], -v[44:45]
	v_fma_f64 v[44:45], v[38:39], s[24:25], v[44:45]
	;; [unrolled: 2-line block ×6, first 2 shown]
	v_add_f64_e32 v[4:5], v[14:15], v[4:5]
	v_add_f64_e32 v[36:37], v[142:143], v[36:37]
	;; [unrolled: 1-line block ×14, first 2 shown]
	v_mul_f64_e32 v[42:43], s[28:29], v[12:13]
	v_mul_f64_e32 v[118:119], s[40:41], v[12:13]
	;; [unrolled: 1-line block ×3, first 2 shown]
	v_fma_f64 v[126:127], v[30:31], s[18:19], -v[40:41]
	v_fma_f64 v[40:41], v[30:31], s[18:19], v[40:41]
	v_fma_f64 v[128:129], v[30:31], s[20:21], -v[48:49]
	v_fma_f64 v[48:49], v[30:31], s[20:21], v[48:49]
	;; [unrolled: 2-line block ×6, first 2 shown]
	v_add_f64_e32 v[4:5], v[22:23], v[4:5]
	v_add_f64_e32 v[30:31], v[158:159], v[36:37]
	;; [unrolled: 1-line block ×14, first 2 shown]
	v_mul_f64_e32 v[32:33], s[22:23], v[20:21]
	v_mul_f64_e32 v[116:117], s[14:15], v[20:21]
	;; [unrolled: 1-line block ×3, first 2 shown]
	v_fma_f64 v[124:125], v[14:15], s[20:21], -v[24:25]
	v_fma_f64 v[24:25], v[14:15], s[20:21], v[24:25]
	v_fma_f64 v[136:137], v[14:15], s[4:5], -v[42:43]
	v_fma_f64 v[42:43], v[14:15], s[4:5], v[42:43]
	;; [unrolled: 2-line block ×4, first 2 shown]
	v_add_f64_e32 v[4:5], v[26:27], v[4:5]
	v_mul_f64_e32 v[26:27], s[26:27], v[20:21]
	v_add_f64_e32 v[16:17], v[132:133], v[16:17]
	v_add_f64_e32 v[8:9], v[146:147], v[8:9]
	;; [unrolled: 1-line block ×5, first 2 shown]
	v_fma_f64 v[40:41], v[22:23], s[20:21], -v[32:33]
	v_fma_f64 v[32:33], v[22:23], s[20:21], v[32:33]
	v_fma_f64 v[114:115], v[22:23], s[18:19], v[116:117]
	v_add_f64_e32 v[4:5], v[50:51], v[4:5]
	v_mul_f64_e32 v[50:51], s[30:31], v[12:13]
	v_mul_f64_e32 v[12:13], s[12:13], v[12:13]
	v_add_f64_e32 v[16:17], v[118:119], v[16:17]
	v_add_f64_e32 v[8:9], v[122:123], v[8:9]
	;; [unrolled: 1-line block ×4, first 2 shown]
	v_mul_f64_e32 v[34:35], s[38:39], v[20:21]
	v_mul_f64_e32 v[20:21], s[12:13], v[20:21]
	v_fma_f64 v[138:139], v[14:15], s[10:11], -v[50:51]
	v_fma_f64 v[50:51], v[14:15], s[10:11], v[50:51]
	v_fma_f64 v[152:153], v[14:15], s[0:1], -v[12:13]
	v_fma_f64 v[12:13], v[14:15], s[0:1], v[12:13]
	v_add_f64_e32 v[14:15], v[126:127], v[30:31]
	v_add_f64_e32 v[30:31], v[128:129], v[36:37]
	;; [unrolled: 1-line block ×7, first 2 shown]
	v_fma_f64 v[112:113], v[22:23], s[18:19], -v[116:117]
	v_fma_f64 v[116:117], v[22:23], s[4:5], -v[120:121]
	v_fma_f64 v[120:121], v[22:23], s[4:5], v[120:121]
	v_add_f64_e32 v[4:5], v[18:19], v[4:5]
	v_fma_f64 v[18:19], v[22:23], s[24:25], -v[26:27]
	v_fma_f64 v[26:27], v[22:23], s[24:25], v[26:27]
	v_fma_f64 v[110:111], v[22:23], s[10:11], -v[34:35]
	v_fma_f64 v[34:35], v[22:23], s[10:11], v[34:35]
	;; [unrolled: 2-line block ×3, first 2 shown]
	v_add_f64_e32 v[14:15], v[124:125], v[14:15]
	v_add_f64_e32 v[22:23], v[136:137], v[30:31]
	;; [unrolled: 1-line block ×23, first 2 shown]
	v_mad_u32_u24 v6, 0x68, v94, 0
	ds_store_2addr_b64 v6, v[20:21], v[22:23] offset0:4 offset1:5
	ds_store_2addr_b64 v6, v[24:25], v[8:9] offset0:6 offset1:7
	ds_store_2addr_b64 v6, v[12:13], v[16:17] offset0:8 offset1:9
	ds_store_2addr_b64 v6, v[28:29], v[18:19] offset0:10 offset1:11
	ds_store_2addr_b64 v6, v[2:3], v[10:11] offset1:1
	ds_store_2addr_b64 v6, v[14:15], v[0:1] offset0:2 offset1:3
	ds_store_b64 v6, v[4:5] offset:96
.LBB0_19:
	s_or_b32 exec_lo, exec_lo, s33
	v_and_b32_e32 v0, 0xff, v108
	v_and_b32_e32 v1, 0xff, v94
	v_add_nc_u32_e32 v40, 0xb6, v108
	global_wb scope:SCOPE_SE
	s_wait_dscnt 0x0
	s_barrier_signal -1
	v_mul_lo_u16 v0, 0x4f, v0
	v_mul_lo_u16 v1, 0x4f, v1
	v_and_b32_e32 v26, 0xffff, v40
	s_barrier_wait -1
	global_inv scope:SCOPE_SE
	v_lshrrev_b16 v23, 10, v0
	v_lshrrev_b16 v25, 10, v1
	s_mov_b32 s10, 0x37e14327
	s_mov_b32 s0, 0x36b3c0b5
	;; [unrolled: 1-line block ×3, first 2 shown]
	v_mul_lo_u16 v0, v23, 13
	v_mul_lo_u16 v2, v25, 13
	v_and_b32_e32 v51, 0xffff, v25
	v_and_b32_e32 v23, 0xffff, v23
	s_mov_b32 s1, 0x3fac98ee
	v_sub_nc_u16 v0, v108, v0
	s_mov_b32 s18, 0xe976ee23
	s_mov_b32 s12, 0x429ad128
	;; [unrolled: 1-line block ×4, first 2 shown]
	v_and_b32_e32 v24, 0xff, v0
	v_mul_u32_u24_e32 v0, 0x4ec5, v26
	v_mul_u32_u24_e32 v26, 0x6817, v26
	s_mov_b32 s20, 0x5476071b
	s_mov_b32 s21, 0x3fe77f67
	v_mul_u32_u24_e32 v1, 6, v24
	v_lshrrev_b32_e32 v20, 18, v0
	s_mov_b32 s23, 0xbfe77f67
	s_wait_alu 0xfffe
	s_mov_b32 s22, s20
	s_mov_b32 s14, 0xaaaaaaaa
	v_lshlrev_b32_e32 v0, 4, v1
	v_sub_nc_u16 v1, v94, v2
	v_mul_lo_u16 v2, v20, 13
	s_mov_b32 s24, 0xb247c609
	s_mov_b32 s15, 0xbff2aaaa
	s_clause 0x3
	global_load_b128 v[27:30], v0, s[8:9]
	global_load_b128 v[31:34], v0, s[8:9] offset:16
	global_load_b128 v[35:38], v0, s[8:9] offset:64
	;; [unrolled: 1-line block ×3, first 2 shown]
	v_and_b32_e32 v21, 0xff, v1
	v_sub_nc_u16 v1, v40, v2
	s_mov_b32 s25, 0xbfd5d0dc
	s_mov_b32 s27, 0x3fd5d0dc
	s_wait_alu 0xfffe
	s_mov_b32 s26, s24
	v_mul_u32_u24_e32 v2, 6, v21
	v_and_b32_e32 v22, 0xffff, v1
	s_mov_b32 s4, 0x37c3f68c
	s_mov_b32 s5, 0xbfdc38aa
	v_mul_u32_u24_e32 v39, 6, v108
	v_lshlrev_b32_e32 v1, 4, v2
	v_mul_u32_u24_e32 v2, 6, v22
	s_delay_alu instid0(VALU_DEP_3)
	v_lshlrev_b32_e32 v39, 4, v39
	global_load_b128 v[8:11], v1, s[8:9] offset:16
	v_lshlrev_b32_e32 v2, 4, v2
	s_clause 0xc
	global_load_b128 v[12:15], v1, s[8:9] offset:80
	global_load_b128 v[16:19], v1, s[8:9]
	global_load_b128 v[45:48], v2, s[8:9]
	global_load_b128 v[110:113], v0, s[8:9] offset:32
	global_load_b128 v[114:117], v2, s[8:9] offset:16
	;; [unrolled: 1-line block ×10, first 2 shown]
	ds_load_2addr_b64 v[0:3], v95 offset0:54 offset1:145
	ds_load_2addr_b64 v[150:153], v96 offset0:34 offset1:125
	;; [unrolled: 1-line block ×7, first 2 shown]
	ds_load_b64 v[188:189], v109 offset:14560
	ds_load_2addr_b64 v[174:177], v98 offset0:68 offset1:159
	ds_load_2addr_b64 v[4:7], v109 offset1:91
	ds_load_2addr_b64 v[178:181], v99 offset0:142 offset1:233
	global_wb scope:SCOPE_SE
	s_wait_loadcnt_dscnt 0x0
	s_barrier_signal -1
	s_barrier_wait -1
	global_inv scope:SCOPE_SE
	v_mul_f64_e32 v[49:50], v[2:3], v[29:30]
	v_mul_f64_e32 v[29:30], v[54:55], v[29:30]
	;; [unrolled: 1-line block ×22, first 2 shown]
	v_fma_f64 v[49:50], v[54:55], v[27:28], v[49:50]
	v_fma_f64 v[2:3], v[2:3], v[27:28], -v[29:30]
	v_mul_f64_e32 v[29:30], v[64:65], v[132:133]
	v_fma_f64 v[54:55], v[84:85], v[31:32], v[182:183]
	v_fma_f64 v[84:85], v[88:89], v[41:42], v[186:187]
	v_fma_f64 v[41:42], v[158:159], v[41:42], -v[43:44]
	v_mul_f64_e32 v[43:44], v[76:77], v[120:121]
	v_mul_f64_e32 v[27:28], v[174:175], v[132:133]
	;; [unrolled: 1-line block ×5, first 2 shown]
	v_fma_f64 v[31:32], v[150:151], v[31:32], -v[33:34]
	v_fma_f64 v[33:34], v[62:63], v[35:36], v[184:185]
	v_fma_f64 v[35:36], v[156:157], v[35:36], -v[37:38]
	v_mul_f64_e32 v[37:38], v[178:179], v[136:137]
	v_mul_f64_e32 v[62:63], v[68:69], v[136:137]
	v_fma_f64 v[90:91], v[90:91], v[12:13], v[192:193]
	v_fma_f64 v[80:81], v[80:81], v[16:17], v[194:195]
	;; [unrolled: 1-line block ×4, first 2 shown]
	v_mul_f64_e32 v[124:125], v[176:177], v[140:141]
	v_mul_f64_e32 v[128:129], v[66:67], v[140:141]
	v_fma_f64 v[72:73], v[72:73], v[114:115], v[200:201]
	v_mul_f64_e32 v[132:133], v[180:181], v[144:145]
	v_mul_f64_e32 v[136:137], v[70:71], v[144:145]
	v_fma_f64 v[76:77], v[76:77], v[118:119], v[202:203]
	v_fma_f64 v[78:79], v[78:79], v[122:123], v[204:205]
	v_mul_f64_e32 v[140:141], v[154:155], v[148:149]
	v_mul_f64_e32 v[144:145], v[60:61], v[148:149]
	v_fma_f64 v[92:93], v[92:93], v[126:127], v[206:207]
	v_fma_f64 v[74:75], v[74:75], v[110:111], v[198:199]
	v_fma_f64 v[110:111], v[168:169], v[110:111], -v[112:113]
	v_fma_f64 v[16:17], v[162:163], v[16:17], -v[18:19]
	;; [unrolled: 1-line block ×5, first 2 shown]
	v_mul_u32_u24_e32 v156, 0x2d8, v23
	v_mul_u32_u24_e32 v157, 0x2d8, v51
	v_lshlrev_b32_e32 v158, 3, v24
	v_fma_f64 v[29:30], v[174:175], v[130:131], -v[29:30]
	v_add_f64_e32 v[47:48], v[49:50], v[84:85]
	v_fma_f64 v[10:11], v[170:171], v[118:119], -v[43:44]
	v_fma_f64 v[27:28], v[64:65], v[130:131], v[27:28]
	v_fma_f64 v[18:19], v[166:167], v[114:115], -v[88:89]
	v_fma_f64 v[43:44], v[188:189], v[126:127], -v[116:117]
	;; [unrolled: 1-line block ×3, first 2 shown]
	v_add_f64_e32 v[64:65], v[54:55], v[33:34]
	v_add_f64_e32 v[122:123], v[31:32], v[35:36]
	v_fma_f64 v[37:38], v[68:69], v[134:135], v[37:38]
	v_fma_f64 v[62:63], v[178:179], v[134:135], -v[62:63]
	v_add_f64_e64 v[33:34], v[54:55], -v[33:34]
	v_add_f64_e32 v[88:89], v[80:81], v[90:91]
	v_add_f64_e64 v[31:32], v[31:32], -v[35:36]
	v_add_f64_e64 v[35:36], v[49:50], -v[84:85]
	v_fma_f64 v[66:67], v[66:67], v[138:139], v[124:125]
	v_fma_f64 v[68:69], v[176:177], v[138:139], -v[128:129]
	v_lshrrev_b32_e32 v128, 16, v26
	v_fma_f64 v[70:71], v[70:71], v[142:143], v[132:133]
	v_fma_f64 v[114:115], v[180:181], v[142:143], -v[136:137]
	v_add_f64_e32 v[112:113], v[86:87], v[76:77]
	v_add_f64_e32 v[120:121], v[72:73], v[78:79]
	v_fma_f64 v[60:61], v[60:61], v[146:147], v[140:141]
	v_fma_f64 v[116:117], v[154:155], v[146:147], -v[144:145]
	v_add_f64_e32 v[118:119], v[82:83], v[92:93]
	v_add_f64_e32 v[25:26], v[2:3], v[41:42]
	v_add_f64_e64 v[2:3], v[2:3], -v[41:42]
	v_sub_nc_u16 v23, v40, v128
	v_add_f64_e64 v[76:77], v[86:87], -v[76:77]
	v_add_f64_e32 v[49:50], v[16:17], v[12:13]
	v_add_f64_e64 v[12:13], v[16:17], -v[12:13]
	v_add_f64_e64 v[72:73], v[72:73], -v[78:79]
	v_lshrrev_b16 v23, 1, v23
	v_add_f64_e32 v[126:127], v[110:111], v[29:30]
	v_add_f64_e64 v[29:30], v[29:30], -v[110:111]
	s_delay_alu instid0(VALU_DEP_3)
	v_add_nc_u16 v51, v23, v128
	v_add_f64_e32 v[54:55], v[8:9], v[10:11]
	v_add_f64_e32 v[124:125], v[74:75], v[27:28]
	v_add_f64_e64 v[27:28], v[27:28], -v[74:75]
	v_add_f64_e32 v[41:42], v[14:15], v[43:44]
	v_add_f64_e32 v[74:75], v[18:19], v[45:46]
	v_add_f64_e64 v[8:9], v[8:9], -v[10:11]
	v_add_f64_e32 v[23:24], v[64:65], v[47:48]
	v_add_f64_e64 v[18:19], v[18:19], -v[45:46]
	v_add_f64_e64 v[14:15], v[14:15], -v[43:44]
	v_lshrrev_b16 v159, 6, v51
	v_add_f64_e32 v[84:85], v[37:38], v[66:67]
	v_add_f64_e64 v[10:11], v[68:69], -v[62:63]
	v_add_f64_e32 v[16:17], v[62:63], v[68:69]
	v_add_f64_e64 v[37:38], v[66:67], -v[37:38]
	v_add_f64_e64 v[66:67], v[80:81], -v[90:91]
	v_add_f64_e32 v[62:63], v[112:113], v[88:89]
	v_add_f64_e64 v[80:81], v[82:83], -v[92:93]
	v_add_f64_e32 v[45:46], v[70:71], v[60:61]
	;; [unrolled: 2-line block ×5, first 2 shown]
	v_add_f64_e64 v[82:83], v[64:65], -v[47:48]
	v_add_f64_e64 v[130:131], v[112:113], -v[88:89]
	;; [unrolled: 1-line block ×4, first 2 shown]
	v_add_f64_e32 v[110:111], v[29:30], v[31:32]
	v_add_f64_e64 v[116:117], v[29:30], -v[31:32]
	v_add_f64_e32 v[122:123], v[54:55], v[49:50]
	v_add_f64_e64 v[47:48], v[47:48], -v[124:125]
	v_add_f64_e64 v[64:65], v[124:125], -v[64:65]
	v_add_f64_e32 v[92:93], v[27:28], v[33:34]
	v_add_f64_e32 v[128:129], v[74:75], v[41:42]
	v_add_f64_e64 v[114:115], v[27:28], -v[33:34]
	v_add_f64_e64 v[33:34], v[33:34], -v[35:36]
	;; [unrolled: 1-line block ×3, first 2 shown]
	v_add_f64_e32 v[23:24], v[124:125], v[23:24]
	v_add_f64_e64 v[134:135], v[8:9], -v[12:13]
	v_add_f64_e64 v[138:139], v[18:19], -v[14:15]
	v_add_f64_e64 v[132:133], v[54:55], -v[49:50]
	v_add_f64_e64 v[27:28], v[35:36], -v[27:28]
	v_add_f64_e64 v[29:30], v[2:3], -v[29:30]
	v_add_f64_e64 v[88:89], v[88:89], -v[84:85]
	v_add_f64_e64 v[112:113], v[84:85], -v[112:113]
	v_add_f64_e64 v[124:125], v[10:11], -v[8:9]
	v_add_f64_e32 v[140:141], v[37:38], v[76:77]
	v_add_f64_e64 v[142:143], v[37:38], -v[76:77]
	v_add_f64_e32 v[62:63], v[84:85], v[62:63]
	v_add_f64_e64 v[76:77], v[76:77], -v[66:67]
	v_add_f64_e64 v[84:85], v[118:119], -v[45:46]
	;; [unrolled: 1-line block ×3, first 2 shown]
	v_add_f64_e32 v[43:44], v[45:46], v[43:44]
	v_add_f64_e32 v[144:145], v[60:61], v[72:73]
	;; [unrolled: 1-line block ×3, first 2 shown]
	v_add_f64_e64 v[45:46], v[45:46], -v[120:121]
	v_add_f64_e64 v[49:50], v[49:50], -v[16:17]
	;; [unrolled: 1-line block ×3, first 2 shown]
	v_add_f64_e32 v[8:9], v[10:11], v[8:9]
	v_add_f64_e64 v[118:119], v[120:121], -v[118:119]
	v_add_f64_e64 v[120:121], v[74:75], -v[41:42]
	v_add_f64_e32 v[18:19], v[68:69], v[18:19]
	v_add_f64_e64 v[41:42], v[41:42], -v[78:79]
	v_add_f64_e64 v[74:75], v[78:79], -v[74:75]
	;; [unrolled: 1-line block ×5, first 2 shown]
	v_add_f64_e32 v[16:17], v[16:17], v[122:123]
	v_mul_f64_e32 v[47:48], s[10:11], v[47:48]
	v_mul_f64_e32 v[146:147], s[0:1], v[64:65]
	v_add_f64_e64 v[10:11], v[12:13], -v[10:11]
	v_add_f64_e32 v[78:79], v[78:79], v[128:129]
	v_mul_f64_e32 v[25:26], s[10:11], v[25:26]
	v_add_f64_e64 v[60:61], v[80:81], -v[60:61]
	v_mul_f64_e32 v[116:117], s[18:19], v[116:117]
	v_add_f64_e64 v[68:69], v[14:15], -v[68:69]
	v_mul_f64_e32 v[122:123], s[12:13], v[31:32]
	v_add_f64_e32 v[56:57], v[56:57], v[23:24]
	v_add_f64_e32 v[35:36], v[92:93], v[35:36]
	v_mul_f64_e32 v[92:93], s[12:13], v[134:135]
	v_add_f64_e32 v[2:3], v[110:111], v[2:3]
	v_mul_f64_e32 v[88:89], s[10:11], v[88:89]
	v_mul_f64_e32 v[148:149], s[12:13], v[138:139]
	;; [unrolled: 1-line block ×5, first 2 shown]
	v_add_f64_e32 v[58:59], v[58:59], v[62:63]
	v_add_f64_e32 v[66:67], v[140:141], v[66:67]
	v_mul_f64_e32 v[84:85], s[10:11], v[84:85]
	v_mul_f64_e32 v[110:111], s[18:19], v[136:137]
	;; [unrolled: 1-line block ×3, first 2 shown]
	v_add_f64_e32 v[51:52], v[52:53], v[43:44]
	v_mul_f64_e32 v[140:141], s[18:19], v[142:143]
	v_mul_f64_e32 v[142:143], s[12:13], v[76:77]
	v_add_f64_e32 v[80:81], v[144:145], v[80:81]
	v_add_f64_e32 v[144:145], v[4:5], v[70:71]
	v_mul_f64_e32 v[128:129], s[0:1], v[112:113]
	v_mul_f64_e32 v[150:151], s[0:1], v[45:46]
	v_add_f64_e32 v[8:9], v[8:9], v[12:13]
	v_mul_f64_e32 v[12:13], s[10:11], v[49:50]
	v_mul_f64_e32 v[49:50], s[0:1], v[54:55]
	;; [unrolled: 3-line block ×3, first 2 shown]
	v_mul_f64_e32 v[41:42], s[0:1], v[74:75]
	v_add_f64_e32 v[154:155], v[6:7], v[16:17]
	v_fma_f64 v[6:7], v[82:83], s[22:23], -v[47:48]
	v_fma_f64 v[146:147], v[82:83], s[20:21], -v[146:147]
	v_mul_f64_e32 v[126:127], s[12:13], v[72:73]
	v_add_f64_e32 v[82:83], v[0:1], v[78:79]
	v_fma_f64 v[64:65], v[64:65], s[0:1], v[47:48]
	v_fma_f64 v[90:91], v[90:91], s[0:1], v[25:26]
	;; [unrolled: 1-line block ×3, first 2 shown]
	v_fma_f64 v[0:1], v[31:32], s[12:13], -v[116:117]
	s_wait_alu 0xfffe
	v_fma_f64 v[29:30], v[29:30], s[26:27], -v[122:123]
	v_fma_f64 v[23:24], v[23:24], s[14:15], v[56:57]
	v_fma_f64 v[25:26], v[86:87], s[22:23], -v[25:26]
	v_fma_f64 v[31:32], v[112:113], s[0:1], v[88:89]
	;; [unrolled: 2-line block ×3, first 2 shown]
	v_fma_f64 v[122:123], v[134:135], s[12:13], -v[124:125]
	v_fma_f64 v[10:11], v[10:11], s[26:27], -v[92:93]
	v_fma_f64 v[62:63], v[62:63], s[14:15], v[58:59]
	v_fma_f64 v[33:34], v[33:34], s[12:13], -v[114:115]
	v_fma_f64 v[45:46], v[45:46], s[0:1], v[84:85]
	v_fma_f64 v[92:93], v[68:69], s[24:25], v[110:111]
	v_fma_f64 v[110:111], v[138:139], s[12:13], -v[110:111]
	v_fma_f64 v[68:69], v[68:69], s[26:27], -v[148:149]
	v_fma_f64 v[43:44], v[43:44], s[14:15], v[51:52]
	v_fma_f64 v[84:85], v[118:119], s[22:23], -v[84:85]
	v_fma_f64 v[124:125], v[86:87], s[20:21], -v[136:137]
	v_fma_f64 v[86:87], v[27:28], s[24:25], v[114:115]
	v_fma_f64 v[27:28], v[27:28], s[26:27], -v[152:153]
	v_fma_f64 v[114:115], v[37:38], s[24:25], v[140:141]
	v_fma_f64 v[76:77], v[76:77], s[12:13], -v[140:141]
	v_fma_f64 v[37:38], v[37:38], s[26:27], -v[142:143]
	v_fma_f64 v[70:71], v[70:71], s[14:15], v[144:145]
	v_fma_f64 v[112:113], v[130:131], s[20:21], -v[128:129]
	;; [unrolled: 3-line block ×3, first 2 shown]
	v_fma_f64 v[16:17], v[16:17], s[14:15], v[154:155]
	v_fma_f64 v[12:13], v[132:133], s[22:23], -v[12:13]
	v_fma_f64 v[74:75], v[74:75], s[0:1], v[18:19]
	v_fma_f64 v[128:129], v[60:61], s[24:25], v[4:5]
	v_fma_f64 v[4:5], v[72:73], s[12:13], -v[4:5]
	v_fma_f64 v[72:73], v[78:79], s[14:15], v[82:83]
	v_fma_f64 v[41:42], v[120:121], s[20:21], -v[41:42]
	v_fma_f64 v[60:61], v[60:61], s[26:27], -v[126:127]
	;; [unrolled: 1-line block ×3, first 2 shown]
	v_fma_f64 v[47:48], v[2:3], s[4:5], v[47:48]
	v_fma_f64 v[0:1], v[2:3], s[4:5], v[0:1]
	;; [unrolled: 1-line block ×3, first 2 shown]
	v_add_f64_e32 v[29:30], v[64:65], v[23:24]
	v_add_f64_e32 v[6:7], v[6:7], v[23:24]
	;; [unrolled: 1-line block ×3, first 2 shown]
	v_mul_u32_u24_e32 v55, 0x2d8, v20
	v_fma_f64 v[64:65], v[8:9], s[4:5], v[116:117]
	v_fma_f64 v[78:79], v[8:9], s[4:5], v[122:123]
	;; [unrolled: 1-line block ×3, first 2 shown]
	v_add_f64_e32 v[10:11], v[31:32], v[62:63]
	v_add_f64_e32 v[31:32], v[88:89], v[62:63]
	v_fma_f64 v[33:34], v[35:36], s[4:5], v[33:34]
	v_fma_f64 v[88:89], v[14:15], s[4:5], v[92:93]
	;; [unrolled: 1-line block ×4, first 2 shown]
	v_lshlrev_b32_e32 v110, 3, v21
	v_add_f64_e32 v[68:69], v[84:85], v[43:44]
	v_add_f64_e32 v[45:46], v[45:46], v[43:44]
	v_fma_f64 v[20:21], v[35:36], s[4:5], v[86:87]
	v_fma_f64 v[27:28], v[35:36], s[4:5], v[27:28]
	;; [unrolled: 1-line block ×5, first 2 shown]
	v_add_f64_e32 v[66:67], v[90:91], v[70:71]
	v_add_f64_e32 v[25:26], v[25:26], v[70:71]
	;; [unrolled: 1-line block ×8, first 2 shown]
	v_fma_f64 v[84:85], v[80:81], s[4:5], v[128:129]
	v_fma_f64 v[4:5], v[80:81], s[4:5], v[4:5]
	v_add_f64_e32 v[49:50], v[74:75], v[72:73]
	v_add_f64_e32 v[41:42], v[41:42], v[72:73]
	v_fma_f64 v[60:61], v[80:81], s[4:5], v[60:61]
	v_add_f64_e32 v[18:19], v[18:19], v[72:73]
	v_lshlrev_b32_e32 v111, 3, v22
	v_mul_lo_u16 v112, 0x5b, v159
	v_add3_u32 v124, 0, v157, v110
	v_add_f64_e32 v[72:73], v[47:48], v[29:30]
	v_add_f64_e32 v[74:75], v[2:3], v[6:7]
	v_add_f64_e64 v[80:81], v[23:24], -v[0:1]
	v_add_f64_e32 v[22:23], v[0:1], v[23:24]
	v_add_f64_e64 v[1:2], v[6:7], -v[2:3]
	v_add_f64_e64 v[6:7], v[29:30], -v[47:48]
	v_add3_u32 v55, 0, v55, v111
	v_add_f64_e32 v[29:30], v[64:65], v[10:11]
	v_add_f64_e64 v[10:11], v[10:11], -v[64:65]
	v_add_f64_e32 v[47:48], v[8:9], v[31:32]
	v_add_f64_e64 v[8:9], v[31:32], -v[8:9]
	v_sub_nc_u16 v0, v40, v112
	v_add3_u32 v126, 0, v156, v158
	v_add_f64_e32 v[64:65], v[14:15], v[68:69]
	v_add_f64_e64 v[14:15], v[68:69], -v[14:15]
	v_add_f64_e32 v[31:32], v[88:89], v[45:46]
	v_add_f64_e64 v[45:46], v[45:46], -v[88:89]
	v_and_b32_e32 v0, 0xffff, v0
	v_add_f64_e64 v[68:69], v[66:67], -v[20:21]
	v_add_f64_e64 v[88:89], v[25:26], -v[27:28]
	v_add_f64_e32 v[90:91], v[33:34], v[70:71]
	v_add_f64_e64 v[86:87], v[62:63], -v[78:79]
	v_add_f64_e32 v[62:63], v[78:79], v[62:63]
	;; [unrolled: 2-line block ×4, first 2 shown]
	v_add_f64_e32 v[66:67], v[20:21], v[66:67]
	v_add_f64_e64 v[110:111], v[53:54], -v[35:36]
	v_add_f64_e64 v[112:113], v[12:13], -v[37:38]
	v_add_f64_e32 v[114:115], v[76:77], v[16:17]
	v_add_f64_e64 v[76:77], v[16:17], -v[76:77]
	v_add_f64_e32 v[37:38], v[37:38], v[12:13]
	v_add_f64_e32 v[53:54], v[35:36], v[53:54]
	v_add_f64_e64 v[116:117], v[49:50], -v[84:85]
	v_add_f64_e64 v[118:119], v[18:19], -v[60:61]
	v_add_f64_e32 v[120:121], v[4:5], v[41:42]
	v_add_f64_e64 v[122:123], v[41:42], -v[4:5]
	v_add_f64_e32 v[60:61], v[60:61], v[18:19]
	v_add_f64_e32 v[49:50], v[84:85], v[49:50]
	ds_store_2addr_b64 v126, v[56:57], v[72:73] offset1:13
	ds_store_2addr_b64 v126, v[74:75], v[80:81] offset0:26 offset1:39
	ds_store_2addr_b64 v126, v[22:23], v[1:2] offset0:52 offset1:65
	ds_store_b64 v126, v[6:7] offset:624
	ds_store_2addr_b64 v124, v[58:59], v[29:30] offset1:13
	ds_store_2addr_b64 v124, v[47:48], v[86:87] offset0:26 offset1:39
	ds_store_2addr_b64 v124, v[62:63], v[8:9] offset0:52 offset1:65
	ds_store_b64 v124, v[10:11] offset:624
	;; [unrolled: 4-line block ×3, first 2 shown]
	global_wb scope:SCOPE_SE
	s_wait_dscnt 0x0
	s_barrier_signal -1
	s_barrier_wait -1
	global_inv scope:SCOPE_SE
	ds_load_2addr_b64 v[1:4], v109 offset1:91
	ds_load_2addr_b64 v[5:8], v95 offset0:54 offset1:145
	ds_load_2addr_b64 v[9:12], v96 offset0:34 offset1:125
	;; [unrolled: 1-line block ×9, first 2 shown]
	ds_load_b64 v[146:147], v109 offset:14560
	global_wb scope:SCOPE_SE
	s_wait_dscnt 0x0
	s_barrier_signal -1
	s_barrier_wait -1
	global_inv scope:SCOPE_SE
	ds_store_2addr_b64 v126, v[144:145], v[68:69] offset1:13
	ds_store_2addr_b64 v126, v[88:89], v[90:91] offset0:26 offset1:39
	ds_store_2addr_b64 v126, v[70:71], v[92:93] offset0:52 offset1:65
	ds_store_b64 v126, v[66:67] offset:624
	ds_store_2addr_b64 v124, v[154:155], v[110:111] offset1:13
	ds_store_2addr_b64 v124, v[112:113], v[114:115] offset0:26 offset1:39
	ds_store_2addr_b64 v124, v[76:77], v[37:38] offset0:52 offset1:65
	ds_store_b64 v124, v[53:54] offset:624
	;; [unrolled: 4-line block ×3, first 2 shown]
	global_wb scope:SCOPE_SE
	s_wait_dscnt 0x0
	s_barrier_signal -1
	s_barrier_wait -1
	global_inv scope:SCOPE_SE
	s_clause 0x3
	global_load_b128 v[45:48], v39, s[8:9] offset:1264
	global_load_b128 v[49:52], v39, s[8:9] offset:1248
	global_load_b128 v[53:56], v39, s[8:9] offset:1328
	global_load_b128 v[57:60], v39, s[8:9] offset:1312
	v_mul_u32_u24_e32 v37, 6, v0
	v_lshl_add_u32 v93, v0, 3, 0
	s_delay_alu instid0(VALU_DEP_2)
	v_lshlrev_b32_e32 v37, 4, v37
	s_clause 0x7
	global_load_b128 v[61:64], v37, s[8:9] offset:1248
	global_load_b128 v[65:68], v37, s[8:9] offset:1264
	;; [unrolled: 1-line block ×8, first 2 shown]
	ds_load_2addr_b64 v[110:113], v95 offset0:54 offset1:145
	ds_load_2addr_b64 v[114:117], v96 offset0:34 offset1:125
	;; [unrolled: 1-line block ×7, first 2 shown]
	ds_load_b64 v[37:38], v109 offset:14560
	ds_load_2addr_b64 v[138:141], v98 offset0:68 offset1:159
	ds_load_2addr_b64 v[142:145], v99 offset0:142 offset1:233
	s_wait_loadcnt_dscnt 0xb08
	v_mul_f64_e32 v[150:151], v[114:115], v[47:48]
	s_wait_loadcnt 0xa
	v_mul_f64_e32 v[148:149], v[112:113], v[51:52]
	s_wait_loadcnt_dscnt 0x907
	v_mul_f64_e32 v[152:153], v[118:119], v[55:56]
	s_wait_loadcnt_dscnt 0x806
	v_mul_f64_e32 v[154:155], v[124:125], v[59:60]
	s_wait_dscnt 0x5
	v_mul_f64_e32 v[156:157], v[126:127], v[51:52]
	v_mul_f64_e32 v[158:159], v[116:117], v[47:48]
	;; [unrolled: 1-line block ×3, first 2 shown]
	s_wait_dscnt 0x4
	v_mul_f64_e32 v[162:163], v[130:131], v[59:60]
	s_wait_loadcnt 0x7
	v_mul_f64_e32 v[164:165], v[128:129], v[63:64]
	s_wait_loadcnt_dscnt 0x603
	v_mul_f64_e32 v[166:167], v[134:135], v[67:68]
	s_wait_loadcnt_dscnt 0x502
	v_mul_f64_e32 v[168:169], v[37:38], v[71:72]
	s_wait_loadcnt 0x4
	v_mul_f64_e32 v[170:171], v[132:133], v[75:76]
	v_mul_f64_e32 v[172:173], v[7:8], v[51:52]
	;; [unrolled: 1-line block ×9, first 2 shown]
	s_wait_loadcnt 0x3
	v_mul_f64_e32 v[176:177], v[136:137], v[79:80]
	s_wait_loadcnt_dscnt 0x201
	v_mul_f64_e32 v[184:185], v[138:139], v[83:84]
	v_mul_f64_e32 v[63:64], v[31:32], v[63:64]
	;; [unrolled: 1-line block ×7, first 2 shown]
	s_wait_dscnt 0x0
	v_mul_f64_e32 v[188:189], v[142:143], v[79:80]
	v_mul_f64_e32 v[79:80], v[33:34], v[79:80]
	;; [unrolled: 1-line block ×4, first 2 shown]
	v_fma_f64 v[9:10], v[9:10], v[45:46], v[150:151]
	v_fma_f64 v[7:8], v[7:8], v[49:50], v[148:149]
	;; [unrolled: 1-line block ×8, first 2 shown]
	s_wait_loadcnt 0x1
	v_mul_f64_e32 v[148:149], v[144:145], v[87:88]
	v_mul_f64_e32 v[87:88], v[35:36], v[87:88]
	s_wait_loadcnt 0x0
	v_mul_f64_e32 v[150:151], v[122:123], v[91:92]
	v_mul_f64_e32 v[91:92], v[21:22], v[91:92]
	v_fma_f64 v[31:32], v[31:32], v[61:62], v[164:165]
	v_fma_f64 v[13:14], v[13:14], v[65:66], v[166:167]
	;; [unrolled: 1-line block ×4, first 2 shown]
	v_fma_f64 v[112:113], v[112:113], v[49:50], -v[172:173]
	v_fma_f64 v[114:115], v[114:115], v[45:46], -v[174:175]
	;; [unrolled: 1-line block ×8, first 2 shown]
	v_fma_f64 v[15:16], v[15:16], v[77:78], v[176:177]
	v_fma_f64 v[17:18], v[17:18], v[81:82], v[184:185]
	v_fma_f64 v[53:54], v[128:129], v[61:62], -v[63:64]
	v_fma_f64 v[55:56], v[134:135], v[65:66], -v[67:68]
	;; [unrolled: 1-line block ×6, first 2 shown]
	v_fma_f64 v[33:34], v[33:34], v[77:78], v[188:189]
	v_fma_f64 v[19:20], v[19:20], v[81:82], v[190:191]
	v_fma_f64 v[63:64], v[142:143], v[77:78], -v[79:80]
	v_fma_f64 v[65:66], v[140:141], v[81:82], -v[83:84]
	v_add_f64_e32 v[59:60], v[7:8], v[25:26]
	v_add_f64_e32 v[61:62], v[9:10], v[23:24]
	v_add_f64_e64 v[23:24], v[9:10], -v[23:24]
	v_add_f64_e64 v[25:26], v[7:8], -v[25:26]
	v_add_f64_e32 v[67:68], v[29:30], v[27:28]
	v_add_f64_e32 v[69:70], v[11:12], v[41:42]
	v_fma_f64 v[35:36], v[35:36], v[85:86], v[148:149]
	v_fma_f64 v[71:72], v[144:145], v[85:86], -v[87:88]
	v_fma_f64 v[21:22], v[21:22], v[89:90], v[150:151]
	v_fma_f64 v[73:74], v[122:123], v[89:90], -v[91:92]
	v_add_f64_e64 v[11:12], v[11:12], -v[41:42]
	v_add_f64_e64 v[27:28], v[29:30], -v[27:28]
	v_add_f64_e32 v[75:76], v[31:32], v[146:147]
	v_add_f64_e32 v[77:78], v[13:14], v[43:44]
	v_add_f64_e64 v[13:14], v[13:14], -v[43:44]
	v_add_f64_e64 v[29:30], v[31:32], -v[146:147]
	v_add_f64_e32 v[79:80], v[112:113], v[118:119]
	v_add_f64_e32 v[81:82], v[114:115], v[124:125]
	;; [unrolled: 4-line block ×3, first 2 shown]
	v_add_f64_e64 v[45:46], v[45:46], -v[47:48]
	v_add_f64_e32 v[83:84], v[15:16], v[17:18]
	v_add_f64_e64 v[15:16], v[17:18], -v[15:16]
	v_add_f64_e64 v[49:50], v[49:50], -v[51:52]
	v_add_f64_e32 v[114:115], v[53:54], v[37:38]
	v_add_f64_e32 v[116:117], v[55:56], v[57:58]
	v_add_f64_e64 v[55:56], v[55:56], -v[57:58]
	v_add_f64_e64 v[17:18], v[138:139], -v[136:137]
	v_add_f64_e32 v[85:86], v[136:137], v[138:139]
	;; [unrolled: 4-line block ×3, first 2 shown]
	v_add_f64_e64 v[19:20], v[19:20], -v[33:34]
	ds_load_2addr_b64 v[7:10], v109 offset1:91
	global_wb scope:SCOPE_SE
	s_wait_dscnt 0x0
	s_barrier_signal -1
	v_add_f64_e32 v[118:119], v[61:62], v[59:60]
	s_barrier_wait -1
	global_inv scope:SCOPE_SE
	v_add_f64_e32 v[63:64], v[69:70], v[67:68]
	v_add_f64_e64 v[128:129], v[69:70], -v[67:68]
	v_add_f64_e32 v[57:58], v[35:36], v[21:22]
	v_add_f64_e64 v[65:66], v[73:74], -v[71:72]
	v_add_f64_e64 v[21:22], v[21:22], -v[35:36]
	v_add_f64_e32 v[31:32], v[71:72], v[73:74]
	v_add_f64_e64 v[35:36], v[61:62], -v[59:60]
	v_add_f64_e32 v[41:42], v[77:78], v[75:76]
	v_add_f64_e32 v[33:34], v[81:82], v[79:80]
	v_add_f64_e64 v[43:44], v[81:82], -v[79:80]
	v_add_f64_e32 v[124:125], v[91:92], v[89:90]
	v_add_f64_e64 v[130:131], v[91:92], -v[89:90]
	v_add_f64_e64 v[53:54], v[59:60], -v[83:84]
	;; [unrolled: 1-line block ×3, first 2 shown]
	v_add_f64_e32 v[73:74], v[15:16], v[23:24]
	v_add_f64_e64 v[132:133], v[45:46], -v[49:50]
	v_add_f64_e32 v[126:127], v[116:117], v[114:115]
	v_add_f64_e64 v[122:123], v[17:18], -v[87:88]
	v_add_f64_e64 v[59:60], v[79:80], -v[85:86]
	v_add_f64_e32 v[79:80], v[17:18], v[87:88]
	v_add_f64_e64 v[87:88], v[87:88], -v[112:113]
	v_add_f64_e64 v[67:68], v[67:68], -v[120:121]
	;; [unrolled: 1-line block ×7, first 2 shown]
	v_add_f64_e32 v[83:84], v[83:84], v[118:119]
	v_add_f64_e64 v[118:119], v[47:48], -v[45:46]
	v_add_f64_e64 v[89:90], v[89:90], -v[51:52]
	v_add_f64_e64 v[91:92], v[51:52], -v[91:92]
	v_add_f64_e32 v[63:64], v[120:121], v[63:64]
	v_add_f64_e32 v[138:139], v[19:20], v[11:12]
	v_add_f64_e32 v[45:46], v[47:48], v[45:46]
	v_add_f64_e64 v[120:121], v[75:76], -v[57:58]
	v_add_f64_e64 v[134:135], v[65:66], -v[55:56]
	v_add_f64_e32 v[142:143], v[21:22], v[13:14]
	v_add_f64_e64 v[144:145], v[21:22], -v[13:14]
	v_add_f64_e64 v[140:141], v[19:20], -v[11:12]
	v_add_f64_e32 v[41:42], v[57:58], v[41:42]
	v_add_f64_e64 v[57:58], v[57:58], -v[77:78]
	v_add_f64_e64 v[11:12], v[11:12], -v[27:28]
	;; [unrolled: 1-line block ×3, first 2 shown]
	v_add_f64_e32 v[33:34], v[85:86], v[33:34]
	v_add_f64_e64 v[75:76], v[77:78], -v[75:76]
	v_add_f64_e64 v[77:78], v[116:117], -v[114:115]
	v_add_f64_e32 v[55:56], v[65:66], v[55:56]
	v_add_f64_e32 v[51:52], v[51:52], v[124:125]
	v_add_f64_e64 v[114:115], v[114:115], -v[31:32]
	v_add_f64_e64 v[116:117], v[31:32], -v[116:117]
	v_mul_f64_e32 v[53:54], s[10:11], v[53:54]
	v_add_f64_e64 v[17:18], v[112:113], -v[17:18]
	v_mul_f64_e32 v[85:86], s[0:1], v[61:62]
	v_add_f64_e32 v[31:32], v[31:32], v[126:127]
	v_add_f64_e64 v[15:16], v[25:26], -v[15:16]
	v_mul_f64_e32 v[122:123], s[18:19], v[122:123]
	v_add_f64_e64 v[47:48], v[49:50], -v[47:48]
	v_add_f64_e32 v[25:26], v[73:74], v[25:26]
	v_mul_f64_e32 v[124:125], s[12:13], v[87:88]
	v_mul_f64_e32 v[67:68], s[10:11], v[67:68]
	;; [unrolled: 1-line block ×4, first 2 shown]
	v_add_f64_e64 v[65:66], v[37:38], -v[65:66]
	v_add_f64_e32 v[79:80], v[79:80], v[112:113]
	v_mul_f64_e32 v[146:147], s[12:13], v[136:137]
	v_add_f64_e32 v[1:2], v[1:2], v[83:84]
	v_mul_f64_e32 v[118:119], s[18:19], v[118:119]
	v_mul_f64_e32 v[59:60], s[10:11], v[59:60]
	v_add_f64_e64 v[21:22], v[29:30], -v[21:22]
	v_add_f64_e32 v[3:4], v[3:4], v[63:64]
	v_mul_f64_e32 v[81:82], s[18:19], v[81:82]
	v_mul_f64_e32 v[150:151], s[12:13], v[23:24]
	;; [unrolled: 1-line block ×5, first 2 shown]
	v_add_f64_e32 v[29:30], v[142:143], v[29:30]
	v_mul_f64_e32 v[142:143], s[18:19], v[144:145]
	v_add_f64_e32 v[5:6], v[5:6], v[41:42]
	v_mul_f64_e32 v[148:149], s[0:1], v[57:58]
	v_add_f64_e64 v[19:20], v[27:28], -v[19:20]
	v_add_f64_e32 v[27:28], v[138:139], v[27:28]
	v_add_f64_e32 v[144:145], v[7:8], v[33:34]
	;; [unrolled: 1-line block ×3, first 2 shown]
	v_mul_f64_e32 v[49:50], s[10:11], v[89:90]
	v_mul_f64_e32 v[89:90], s[0:1], v[91:92]
	v_mul_f64_e32 v[138:139], s[18:19], v[140:141]
	v_mul_f64_e32 v[140:141], s[12:13], v[11:12]
	v_mul_f64_e32 v[7:8], s[12:13], v[13:14]
	v_add_f64_e32 v[152:153], v[9:10], v[51:52]
	v_add_f64_e32 v[37:38], v[55:56], v[37:38]
	v_mul_f64_e32 v[55:56], s[10:11], v[114:115]
	v_fma_f64 v[61:62], v[61:62], s[0:1], v[53:54]
	v_fma_f64 v[9:10], v[35:36], s[22:23], -v[53:54]
	v_add_f64_e32 v[53:54], v[110:111], v[31:32]
	v_mul_f64_e32 v[114:115], s[0:1], v[116:117]
	v_fma_f64 v[85:86], v[35:36], s[20:21], -v[85:86]
	v_fma_f64 v[35:36], v[17:18], s[24:25], v[122:123]
	v_fma_f64 v[87:88], v[87:88], s[12:13], -v[122:123]
	v_fma_f64 v[17:18], v[17:18], s[26:27], -v[124:125]
	v_fma_f64 v[69:70], v[69:70], s[0:1], v[67:68]
	v_fma_f64 v[67:68], v[128:129], s[22:23], -v[67:68]
	v_fma_f64 v[110:111], v[128:129], s[20:21], -v[126:127]
	v_add_nc_u32_e32 v128, 0x2c00, v93
	v_fma_f64 v[83:84], v[83:84], s[14:15], v[1:2]
	v_fma_f64 v[122:123], v[47:48], s[24:25], v[118:119]
	v_fma_f64 v[118:119], v[132:133], s[12:13], -v[118:119]
	v_fma_f64 v[47:48], v[47:48], s[26:27], -v[73:74]
	v_fma_f64 v[63:64], v[63:64], s[14:15], v[3:4]
	v_fma_f64 v[71:72], v[71:72], s[0:1], v[59:60]
	v_fma_f64 v[23:24], v[23:24], s[12:13], -v[81:82]
	v_fma_f64 v[57:58], v[57:58], s[0:1], v[112:113]
	v_fma_f64 v[73:74], v[65:66], s[24:25], v[120:121]
	v_fma_f64 v[120:121], v[136:137], s[12:13], -v[120:121]
	v_fma_f64 v[65:66], v[65:66], s[26:27], -v[146:147]
	;; [unrolled: 1-line block ×3, first 2 shown]
	v_fma_f64 v[41:42], v[41:42], s[14:15], v[5:6]
	v_fma_f64 v[75:76], v[75:76], s[20:21], -v[148:149]
	v_fma_f64 v[124:125], v[43:44], s[20:21], -v[134:135]
	v_fma_f64 v[43:44], v[43:44], s[22:23], -v[59:60]
	v_fma_f64 v[59:60], v[15:16], s[24:25], v[81:82]
	v_fma_f64 v[33:34], v[33:34], s[14:15], v[144:145]
	v_fma_f64 v[15:16], v[15:16], s[26:27], -v[150:151]
	v_fma_f64 v[81:82], v[91:92], s[0:1], v[49:50]
	v_fma_f64 v[89:90], v[130:131], s[20:21], -v[89:90]
	v_fma_f64 v[49:50], v[130:131], s[22:23], -v[49:50]
	v_fma_f64 v[91:92], v[19:20], s[24:25], v[138:139]
	v_fma_f64 v[11:12], v[11:12], s[12:13], -v[138:139]
	;; [unrolled: 3-line block ×3, first 2 shown]
	v_fma_f64 v[7:8], v[21:22], s[26:27], -v[7:8]
	v_fma_f64 v[21:22], v[51:52], s[14:15], v[152:153]
	v_fma_f64 v[116:117], v[116:117], s[0:1], v[55:56]
	;; [unrolled: 1-line block ×3, first 2 shown]
	v_fma_f64 v[114:115], v[77:78], s[20:21], -v[114:115]
	v_fma_f64 v[51:52], v[77:78], s[22:23], -v[55:56]
	v_fma_f64 v[35:36], v[79:80], s[4:5], v[35:36]
	v_fma_f64 v[55:56], v[79:80], s[4:5], v[87:88]
	;; [unrolled: 1-line block ×3, first 2 shown]
	v_add_nc_u32_e32 v129, 0x3000, v93
	v_add_f64_e32 v[61:62], v[61:62], v[83:84]
	v_add_f64_e32 v[9:10], v[9:10], v[83:84]
	;; [unrolled: 1-line block ×3, first 2 shown]
	v_fma_f64 v[79:80], v[45:46], s[4:5], v[122:123]
	v_fma_f64 v[83:84], v[45:46], s[4:5], v[118:119]
	v_fma_f64 v[45:46], v[45:46], s[4:5], v[47:48]
	v_add_f64_e32 v[47:48], v[69:70], v[63:64]
	v_add_f64_e32 v[67:68], v[67:68], v[63:64]
	;; [unrolled: 1-line block ×3, first 2 shown]
	v_fma_f64 v[69:70], v[37:38], s[4:5], v[73:74]
	v_fma_f64 v[73:74], v[37:38], s[4:5], v[120:121]
	;; [unrolled: 1-line block ×3, first 2 shown]
	v_add_f64_e32 v[57:58], v[57:58], v[41:42]
	v_add_f64_e32 v[65:66], v[112:113], v[41:42]
	v_add_f64_e32 v[75:76], v[75:76], v[41:42]
	v_fma_f64 v[23:24], v[25:26], s[4:5], v[23:24]
	v_fma_f64 v[59:60], v[25:26], s[4:5], v[59:60]
	v_add_f64_e32 v[71:72], v[71:72], v[33:34]
	v_fma_f64 v[15:16], v[25:26], s[4:5], v[15:16]
	v_add_f64_e32 v[42:43], v[43:44], v[33:34]
	v_add_f64_e32 v[33:34], v[124:125], v[33:34]
	v_lshl_add_u32 v41, v108, 3, 0
	v_fma_f64 v[25:26], v[27:28], s[4:5], v[91:92]
	v_fma_f64 v[11:12], v[27:28], s[4:5], v[11:12]
	;; [unrolled: 1-line block ×6, first 2 shown]
	v_add_f64_e32 v[29:30], v[81:82], v[21:22]
	v_add_f64_e32 v[81:82], v[89:90], v[21:22]
	;; [unrolled: 1-line block ×6, first 2 shown]
	v_add_nc_u32_e32 v126, 0x800, v41
	v_add_nc_u32_e32 v127, 0x2400, v93
	v_add_f64_e32 v[51:52], v[35:36], v[61:62]
	v_add_f64_e32 v[87:88], v[17:18], v[9:10]
	v_add_f64_e64 v[89:90], v[77:78], -v[55:56]
	v_add_f64_e32 v[55:56], v[55:56], v[77:78]
	v_add_f64_e64 v[9:10], v[9:10], -v[17:18]
	v_add_f64_e64 v[17:18], v[61:62], -v[35:36]
	v_add_f64_e32 v[35:36], v[79:80], v[47:48]
	v_add_f64_e32 v[61:62], v[45:46], v[67:68]
	v_add_f64_e64 v[77:78], v[63:64], -v[83:84]
	v_add_f64_e32 v[63:64], v[83:84], v[63:64]
	v_add_f64_e64 v[44:45], v[67:68], -v[45:46]
	v_add_f64_e64 v[46:47], v[47:48], -v[79:80]
	;; [unrolled: 6-line block ×3, first 2 shown]
	v_add_f64_e64 v[65:66], v[71:72], -v[59:60]
	v_add_f64_e64 v[69:70], v[42:43], -v[15:16]
	v_add_f64_e32 v[75:76], v[23:24], v[33:34]
	v_add_f64_e64 v[91:92], v[33:34], -v[23:24]
	v_add_f64_e32 v[42:43], v[15:16], v[42:43]
	v_add_f64_e32 v[59:60], v[59:60], v[71:72]
	ds_store_2addr_b64 v109, v[1:2], v[51:52] offset1:91
	ds_store_2addr_b64 v95, v[87:88], v[89:90] offset0:54 offset1:145
	ds_store_2addr_b64 v102, v[55:56], v[9:10] offset0:108 offset1:199
	;; [unrolled: 1-line block ×9, first 2 shown]
	ds_store_b64 v93, v[57:58] offset:14560
	v_add_f64_e64 v[71:72], v[29:30], -v[25:26]
	v_add_f64_e64 v[110:111], v[21:22], -v[19:20]
	v_add_f64_e32 v[112:113], v[11:12], v[81:82]
	v_add_f64_e64 v[81:82], v[81:82], -v[11:12]
	v_add_f64_e32 v[114:115], v[19:20], v[21:22]
	v_add_f64_e32 v[116:117], v[25:26], v[29:30]
	v_add_f64_e64 v[118:119], v[49:50], -v[27:28]
	v_add_f64_e64 v[120:121], v[31:32], -v[7:8]
	v_add_f64_e32 v[122:123], v[13:14], v[85:86]
	v_add_f64_e64 v[85:86], v[85:86], -v[13:14]
	v_add_f64_e32 v[124:125], v[7:8], v[31:32]
	v_add_f64_e32 v[48:49], v[27:28], v[49:50]
	global_wb scope:SCOPE_SE
	s_wait_dscnt 0x0
	s_barrier_signal -1
	s_barrier_wait -1
	global_inv scope:SCOPE_SE
	ds_load_2addr_b64 v[12:15], v109 offset1:91
	ds_load_2addr_b64 v[0:3], v96 offset0:34 offset1:125
	ds_load_2addr_b64 v[36:39], v101 offset0:122 offset1:213
	;; [unrolled: 1-line block ×9, first 2 shown]
	ds_load_b64 v[100:101], v109 offset:14560
	global_wb scope:SCOPE_SE
	s_wait_dscnt 0x0
	s_barrier_signal -1
	s_barrier_wait -1
	global_inv scope:SCOPE_SE
	ds_store_2addr_b64 v109, v[144:145], v[65:66] offset1:91
	ds_store_2addr_b64 v95, v[69:70], v[75:76] offset0:54 offset1:145
	ds_store_2addr_b64 v102, v[91:92], v[42:43] offset0:108 offset1:199
	;; [unrolled: 1-line block ×9, first 2 shown]
	ds_store_b64 v93, v[48:49] offset:14560
	global_wb scope:SCOPE_SE
	s_wait_dscnt 0x0
	s_barrier_signal -1
	s_barrier_wait -1
	global_inv scope:SCOPE_SE
	s_and_saveexec_b32 s0, vcc_lo
	s_cbranch_execz .LBB0_21
; %bb.20:
	v_dual_mov_b32 v45, 0 :: v_dual_lshlrev_b32 v42, 1, v108
	v_mul_lo_u32 v137, s3, v106
	v_mul_lo_u32 v138, s2, v107
	v_mad_co_u64_u32 v[135:136], null, s2, v106, 0
	s_delay_alu instid0(VALU_DEP_4) | instskip(SKIP_3) | instid1(VALU_DEP_4)
	v_dual_mov_b32 v43, v45 :: v_dual_add_nc_u32 v44, 0x444, v42
	v_add_nc_u32_e32 v111, 0x1000, v109
	v_add_nc_u32_e32 v115, 0x2000, v109
	;; [unrolled: 1-line block ×3, first 2 shown]
	v_lshlrev_b64_e32 v[56:57], 4, v[44:45]
	v_add_nc_u32_e32 v44, 0x38e, v42
	v_add_nc_u32_e32 v123, 0x3000, v109
	v_add_nc_u32_e32 v127, 0x1800, v109
	v_add_nc_u32_e32 v131, 0x400, v109
	v_add_nc_u32_e32 v110, 0x2c00, v109
	v_lshlrev_b64_e32 v[58:59], 4, v[44:45]
	v_add_nc_u32_e32 v44, 0x2d8, v42
	v_add_nc_u32_e32 v107, 0x1400, v109
	;; [unrolled: 1-line block ×4, first 2 shown]
	v_add3_u32 v136, v136, v138, v137
	v_lshlrev_b64_e32 v[46:47], 4, v[44:45]
	v_add_nc_u32_e32 v44, 0x222, v42
	v_lshlrev_b64_e32 v[42:43], 4, v[42:43]
	v_mul_hi_u32 v145, 0x9b876f53, v139
	v_lshlrev_b64_e32 v[135:136], 4, v[135:136]
	v_lshlrev_b64_e32 v[104:105], 4, v[104:105]
	;; [unrolled: 1-line block ×3, first 2 shown]
	v_lshlrev_b32_e32 v44, 1, v40
	v_add_co_u32 v42, vcc_lo, s8, v42
	s_wait_alu 0xfffd
	v_add_co_ci_u32_e32 v43, vcc_lo, s9, v43, vcc_lo
	s_delay_alu instid0(VALU_DEP_3)
	v_lshlrev_b64_e32 v[50:51], 4, v[44:45]
	v_lshlrev_b32_e32 v44, 1, v94
	v_sub_nc_u32_e32 v150, v139, v145
	global_load_b128 v[92:95], v[42:43], off offset:10000
	v_add_nc_u32_e32 v141, 0x111, v108
	v_add_nc_u32_e32 v143, 0x1c7, v108
	v_lshlrev_b64_e32 v[44:45], 4, v[44:45]
	v_add_nc_u32_e32 v144, 0x222, v108
	s_mov_b32 s0, 0xe8584caa
	v_mul_hi_u32 v147, 0x9b876f53, v141
	v_mul_hi_u32 v138, 0x9b876f53, v143
	s_mov_b32 s1, 0xbfebb67a
	v_add_co_u32 v60, vcc_lo, s8, v44
	s_wait_alu 0xfffd
	v_add_co_ci_u32_e32 v61, vcc_lo, s9, v45, vcc_lo
	v_add_co_u32 v62, vcc_lo, s8, v46
	s_wait_alu 0xfffd
	v_add_co_ci_u32_e32 v63, vcc_lo, s9, v47, vcc_lo
	;; [unrolled: 3-line block ×3, first 2 shown]
	s_clause 0x3
	global_load_b128 v[88:91], v[60:61], off offset:10000
	global_load_b128 v[96:99], v[42:43], off offset:9984
	;; [unrolled: 1-line block ×4, first 2 shown]
	v_add_co_u32 v42, vcc_lo, s8, v50
	s_wait_alu 0xfffd
	v_add_co_ci_u32_e32 v43, vcc_lo, s9, v51, vcc_lo
	s_clause 0x3
	global_load_b128 v[48:51], v[48:49], off offset:10000
	global_load_b128 v[68:71], v[42:43], off offset:9984
	;; [unrolled: 1-line block ×4, first 2 shown]
	v_add_co_u32 v42, vcc_lo, s8, v56
	s_wait_alu 0xfffd
	v_add_co_ci_u32_e32 v43, vcc_lo, s9, v57, vcc_lo
	s_clause 0x1
	global_load_b128 v[76:79], v[42:43], off offset:9984
	global_load_b128 v[72:75], v[42:43], off offset:10000
	v_add_co_u32 v42, vcc_lo, s8, v58
	s_wait_alu 0xfffd
	v_add_co_ci_u32_e32 v43, vcc_lo, s9, v59, vcc_lo
	s_clause 0x2
	global_load_b128 v[80:83], v[62:63], off offset:10000
	global_load_b128 v[60:63], v[42:43], off offset:9984
	;; [unrolled: 1-line block ×3, first 2 shown]
	ds_load_b64 v[102:103], v109 offset:14560
	ds_load_2addr_b64 v[40:43], v109 offset1:91
	v_mul_hi_u32 v109, 0x9b876f53, v108
	v_add_co_u32 v135, vcc_lo, s6, v135
	s_wait_alu 0xfffd
	v_add_co_ci_u32_e32 v136, vcc_lo, s7, v136, vcc_lo
	v_sub_nc_u32_e32 v152, v141, v147
	s_delay_alu instid0(VALU_DEP_3)
	v_add_co_u32 v204, vcc_lo, v135, v104
	v_sub_nc_u32_e32 v148, v108, v109
	v_mul_hi_u32 v149, 0x9b876f53, v144
	v_sub_nc_u32_e32 v154, v143, v138
	s_wait_alu 0xfffd
	v_add_co_ci_u32_e32 v205, vcc_lo, v136, v105, vcc_lo
	v_lshrrev_b32_e32 v148, 1, v148
	s_mov_b32 s3, 0x3febb67a
	s_wait_alu 0xfffe
	s_mov_b32 s2, s0
	v_sub_nc_u32_e32 v155, v144, v149
	v_add_nc_u32_e32 v109, v148, v109
	v_lshrrev_b32_e32 v148, 1, v150
	s_delay_alu instid0(VALU_DEP_2) | instskip(NEXT) | instid1(VALU_DEP_2)
	v_lshrrev_b32_e32 v109, 9, v109
	v_add_nc_u32_e32 v145, v148, v145
	s_delay_alu instid0(VALU_DEP_2) | instskip(NEXT) | instid1(VALU_DEP_2)
	v_mul_u32_u24_e32 v104, 0x27d, v109
	v_lshrrev_b32_e32 v109, 9, v145
	s_delay_alu instid0(VALU_DEP_1) | instskip(NEXT) | instid1(VALU_DEP_1)
	v_mul_u32_u24_e32 v145, 0x27d, v109
	v_sub_nc_u32_e32 v139, v139, v145
	s_delay_alu instid0(VALU_DEP_1) | instskip(NEXT) | instid1(VALU_DEP_1)
	v_mad_u32_u24 v185, 0x777, v109, v139
	v_add_nc_u32_e32 v191, 0x27d, v185
	s_delay_alu instid0(VALU_DEP_1) | instskip(SKIP_1) | instid1(VALU_DEP_1)
	v_mad_co_u64_u32 v[159:160], null, s16, v191, 0
	v_add_nc_u32_e32 v140, 0xb6, v108
	v_mul_hi_u32 v146, 0x9b876f53, v140
	s_delay_alu instid0(VALU_DEP_1) | instskip(NEXT) | instid1(VALU_DEP_1)
	v_sub_nc_u32_e32 v151, v140, v146
	v_lshrrev_b32_e32 v150, 1, v151
	v_lshrrev_b32_e32 v151, 1, v152
	s_delay_alu instid0(VALU_DEP_2) | instskip(NEXT) | instid1(VALU_DEP_2)
	v_add_nc_u32_e32 v146, v150, v146
	v_add_nc_u32_e32 v147, v151, v147
	s_delay_alu instid0(VALU_DEP_2) | instskip(NEXT) | instid1(VALU_DEP_2)
	v_lshrrev_b32_e32 v135, 9, v146
	v_lshrrev_b32_e32 v136, 9, v147
	s_delay_alu instid0(VALU_DEP_2) | instskip(NEXT) | instid1(VALU_DEP_1)
	v_mul_u32_u24_e32 v146, 0x27d, v135
	v_sub_nc_u32_e32 v140, v140, v146
	s_delay_alu instid0(VALU_DEP_1) | instskip(NEXT) | instid1(VALU_DEP_1)
	v_mad_u32_u24 v186, 0x777, v135, v140
	v_add_nc_u32_e32 v193, 0x27d, v186
	v_add_nc_u32_e32 v194, 0x4fa, v186
	s_delay_alu instid0(VALU_DEP_2) | instskip(SKIP_2) | instid1(VALU_DEP_4)
	v_mad_co_u64_u32 v[163:164], null, s16, v193, 0
	v_add_nc_u32_e32 v142, 0x16c, v108
	v_sub_nc_u32_e32 v108, v108, v104
	v_mad_co_u64_u32 v[165:166], null, s16, v194, 0
	s_delay_alu instid0(VALU_DEP_3) | instskip(NEXT) | instid1(VALU_DEP_3)
	v_mul_hi_u32 v137, 0x9b876f53, v142
	v_add_nc_u32_e32 v183, 0x27d, v108
	v_mad_co_u64_u32 v[104:105], null, s16, v108, 0
	s_delay_alu instid0(VALU_DEP_3) | instskip(NEXT) | instid1(VALU_DEP_1)
	v_sub_nc_u32_e32 v153, v142, v137
	v_lshrrev_b32_e32 v152, 1, v153
	v_lshrrev_b32_e32 v153, 1, v154
	v_lshrrev_b32_e32 v154, 1, v155
	s_delay_alu instid0(VALU_DEP_3) | instskip(NEXT) | instid1(VALU_DEP_2)
	v_add_nc_u32_e32 v137, v152, v137
	v_add_nc_u32_e32 v148, v154, v149
	s_delay_alu instid0(VALU_DEP_2) | instskip(NEXT) | instid1(VALU_DEP_2)
	v_lshrrev_b32_e32 v137, 9, v137
	v_lshrrev_b32_e32 v147, 9, v148
	v_mul_u32_u24_e32 v148, 0x27d, v136
	s_delay_alu instid0(VALU_DEP_3) | instskip(NEXT) | instid1(VALU_DEP_3)
	v_mul_u32_u24_e32 v149, 0x27d, v137
	v_mul_u32_u24_e32 v151, 0x27d, v147
	s_delay_alu instid0(VALU_DEP_3) | instskip(NEXT) | instid1(VALU_DEP_3)
	v_sub_nc_u32_e32 v141, v141, v148
	v_sub_nc_u32_e32 v142, v142, v149
	s_delay_alu instid0(VALU_DEP_3) | instskip(NEXT) | instid1(VALU_DEP_3)
	v_sub_nc_u32_e32 v149, v144, v151
	v_mad_u32_u24 v187, 0x777, v136, v141
	s_delay_alu instid0(VALU_DEP_3) | instskip(NEXT) | instid1(VALU_DEP_3)
	v_mad_u32_u24 v188, 0x777, v137, v142
	v_mad_u32_u24 v190, 0x777, v147, v149
	s_delay_alu instid0(VALU_DEP_3) | instskip(NEXT) | instid1(VALU_DEP_3)
	v_mad_co_u64_u32 v[151:152], null, s16, v187, 0
	v_add_nc_u32_e32 v198, 0x4fa, v188
	v_add_nc_u32_e32 v195, 0x27d, v187
	s_delay_alu instid0(VALU_DEP_4) | instskip(SKIP_1) | instid1(VALU_DEP_4)
	v_add_nc_u32_e32 v201, 0x27d, v190
	v_mad_co_u64_u32 v[157:158], null, s16, v190, 0
	v_mad_co_u64_u32 v[173:174], null, s16, v198, 0
	v_add_nc_u32_e32 v138, v153, v138
	s_delay_alu instid0(VALU_DEP_4) | instskip(SKIP_2) | instid1(VALU_DEP_4)
	v_mad_co_u64_u32 v[179:180], null, s16, v201, 0
	v_add_nc_u32_e32 v192, 0x4fa, v185
	v_mad_co_u64_u32 v[153:154], null, s16, v188, 0
	v_lshrrev_b32_e32 v138, 9, v138
	v_mov_b32_e32 v141, v158
	s_delay_alu instid0(VALU_DEP_4) | instskip(SKIP_1) | instid1(VALU_DEP_4)
	v_mad_co_u64_u32 v[161:162], null, s16, v192, 0
	v_add_nc_u32_e32 v196, 0x4fa, v187
	v_mul_u32_u24_e32 v150, 0x27d, v138
	v_mov_b32_e32 v139, v154
	v_add_nc_u32_e32 v197, 0x27d, v188
	v_add_nc_u32_e32 v202, 0x4fa, v190
	v_mad_co_u64_u32 v[169:170], null, s16, v196, 0
	v_sub_nc_u32_e32 v148, v143, v150
	v_mad_co_u64_u32 v[143:144], null, s16, v183, 0
	v_mad_co_u64_u32 v[149:150], null, s16, v186, 0
	s_delay_alu instid0(VALU_DEP_3) | instskip(SKIP_3) | instid1(VALU_DEP_4)
	v_mad_u32_u24 v189, 0x777, v138, v148
	v_mad_co_u64_u32 v[147:148], null, s16, v185, 0
	v_mov_b32_e32 v138, v152
	v_mov_b32_e32 v142, v162
	v_add_nc_u32_e32 v200, 0x4fa, v189
	v_mad_co_u64_u32 v[155:156], null, s16, v189, 0
	v_add_nc_u32_e32 v199, 0x27d, v189
	v_mad_co_u64_u32 v[181:182], null, s16, v202, 0
	s_delay_alu instid0(VALU_DEP_4) | instskip(SKIP_3) | instid1(VALU_DEP_3)
	v_mad_co_u64_u32 v[177:178], null, s16, v200, 0
	v_add_nc_u32_e32 v184, 0x4fa, v108
	v_mad_co_u64_u32 v[108:109], null, s17, v108, v[105:106]
	v_dual_mov_b32 v105, v144 :: v_dual_mov_b32 v140, v156
	v_mad_co_u64_u32 v[145:146], null, s16, v184, 0
	s_delay_alu instid0(VALU_DEP_2) | instskip(NEXT) | instid1(VALU_DEP_4)
	v_mad_co_u64_u32 v[135:136], null, s17, v183, v[105:106]
	v_mov_b32_e32 v105, v108
	s_delay_alu instid0(VALU_DEP_3) | instskip(NEXT) | instid1(VALU_DEP_2)
	v_mov_b32_e32 v109, v146
	v_lshlrev_b64_e32 v[104:105], 4, v[104:105]
	s_delay_alu instid0(VALU_DEP_4) | instskip(NEXT) | instid1(VALU_DEP_3)
	v_mov_b32_e32 v144, v135
	v_mad_co_u64_u32 v[136:137], null, s17, v184, v[109:110]
	v_mov_b32_e32 v109, v148
	v_mov_b32_e32 v137, v150
	v_add_co_u32 v104, vcc_lo, v204, v104
	s_wait_alu 0xfffd
	v_add_co_ci_u32_e32 v105, vcc_lo, v205, v105, vcc_lo
	v_mad_co_u64_u32 v[108:109], null, s17, v185, v[109:110]
	v_mov_b32_e32 v109, v160
	v_mad_co_u64_u32 v[183:184], null, s17, v186, v[137:138]
	v_mad_co_u64_u32 v[184:185], null, s17, v187, v[138:139]
	v_mov_b32_e32 v137, v164
	v_mad_co_u64_u32 v[185:186], null, s17, v188, v[139:140]
	v_mov_b32_e32 v138, v166
	v_mad_co_u64_u32 v[186:187], null, s17, v189, v[140:141]
	v_mad_co_u64_u32 v[187:188], null, s17, v190, v[141:142]
	;; [unrolled: 1-line block ×6, first 2 shown]
	v_mov_b32_e32 v146, v136
	v_dual_mov_b32 v136, v170 :: v_dual_mov_b32 v137, v174
	v_dual_mov_b32 v139, v180 :: v_dual_mov_b32 v140, v182
	v_mov_b32_e32 v150, v183
	v_mov_b32_e32 v166, v191
	v_mad_co_u64_u32 v[167:168], null, s16, v195, 0
	ds_load_2addr_b64 v[111:114], v111 offset0:34 offset1:125
	ds_load_2addr_b64 v[115:118], v115 offset0:68 offset1:159
	;; [unrolled: 1-line block ×6, first 2 shown]
	v_mov_b32_e32 v152, v184
	v_mov_b32_e32 v154, v185
	;; [unrolled: 1-line block ×4, first 2 shown]
	v_dual_mov_b32 v160, v188 :: v_dual_mov_b32 v135, v168
	v_mov_b32_e32 v162, v189
	v_mov_b32_e32 v164, v190
	;; [unrolled: 1-line block ×3, first 2 shown]
	v_lshlrev_b64_e32 v[143:144], 4, v[143:144]
	v_mad_co_u64_u32 v[192:193], null, s17, v195, v[135:136]
	v_mad_co_u64_u32 v[193:194], null, s17, v196, v[136:137]
	v_lshlrev_b64_e32 v[145:146], 4, v[145:146]
	v_lshlrev_b64_e32 v[147:148], 4, v[147:148]
	v_add_co_u32 v143, vcc_lo, v204, v143
	v_mov_b32_e32 v168, v192
	v_mad_co_u64_u32 v[171:172], null, s16, v197, 0
	v_mov_b32_e32 v170, v193
	v_mad_co_u64_u32 v[175:176], null, s16, v199, 0
	s_wait_alu 0xfffd
	v_add_co_ci_u32_e32 v144, vcc_lo, v205, v144, vcc_lo
	v_lshlrev_b64_e32 v[149:150], 4, v[149:150]
	v_mov_b32_e32 v109, v172
	v_add_co_u32 v145, vcc_lo, v204, v145
	v_mov_b32_e32 v135, v176
	s_wait_alu 0xfffd
	v_add_co_ci_u32_e32 v146, vcc_lo, v205, v146, vcc_lo
	v_mad_co_u64_u32 v[194:195], null, s17, v197, v[109:110]
	v_mov_b32_e32 v109, v178
	s_wait_loadcnt 0xc
	v_mul_f64_e32 v[186:187], v[38:39], v[90:91]
	s_wait_loadcnt 0xb
	v_mul_f64_e32 v[188:189], v[2:3], v[98:99]
	s_wait_dscnt 0x5
	v_mul_f64_e32 v[98:99], v[113:114], v[98:99]
	s_wait_loadcnt 0xa
	v_mul_f64_e32 v[190:191], v[26:27], v[46:47]
	v_mad_co_u64_u32 v[195:196], null, s17, v198, v[137:138]
	v_mov_b32_e32 v172, v194
	v_mad_co_u64_u32 v[182:183], null, s17, v201, v[139:140]
	v_mad_co_u64_u32 v[183:184], null, s17, v202, v[140:141]
	ds_load_2addr_b64 v[139:142], v106 offset0:122 offset1:213
	v_mul_f64_e32 v[184:185], v[36:37], v[94:95]
	v_mad_co_u64_u32 v[196:197], null, s17, v199, v[135:136]
	v_mad_co_u64_u32 v[197:198], null, s17, v200, v[109:110]
	ds_load_2addr_b64 v[135:138], v110 offset0:48 offset1:139
	ds_load_2addr_b64 v[107:110], v107 offset0:88 offset1:179
	s_wait_loadcnt 0x5
	v_mul_f64_e32 v[200:201], v[28:29], v[86:87]
	v_mul_f64_e32 v[192:193], v[24:25], v[54:55]
	v_mov_b32_e32 v176, v196
	v_mul_f64_e32 v[198:199], v[32:33], v[66:67]
	v_mov_b32_e32 v178, v197
	;; [unrolled: 2-line block ×3, first 2 shown]
	v_mul_f64_e32 v[194:195], v[34:35], v[50:51]
	s_wait_dscnt 0x4
	v_mul_f64_e32 v[54:55], v[127:128], v[54:55]
	v_mul_f64_e32 v[46:47], v[129:130], v[46:47]
	s_wait_loadcnt 0x4
	v_mul_f64_e32 v[202:203], v[22:23], v[78:79]
	v_mul_f64_e32 v[78:79], v[117:118], v[78:79]
	s_wait_dscnt 0x2
	v_mul_f64_e32 v[94:95], v[139:140], v[94:95]
	v_mul_f64_e32 v[90:91], v[141:142], v[90:91]
	v_lshlrev_b64_e32 v[151:152], 4, v[151:152]
	v_lshlrev_b64_e32 v[153:154], 4, v[153:154]
	;; [unrolled: 1-line block ×4, first 2 shown]
	s_wait_dscnt 0x1
	v_mul_f64_e32 v[66:67], v[135:136], v[66:67]
	s_wait_dscnt 0x0
	v_mul_f64_e32 v[86:87], v[107:108], v[86:87]
	v_mul_f64_e32 v[70:71], v[109:110], v[70:71]
	;; [unrolled: 1-line block ×3, first 2 shown]
	v_fma_f64 v[2:3], v[2:3], v[96:97], v[98:99]
	v_lshlrev_b64_e32 v[161:162], 4, v[161:162]
	v_lshlrev_b64_e32 v[163:164], 4, v[163:164]
	;; [unrolled: 1-line block ×8, first 2 shown]
	v_fma_f64 v[139:140], v[139:140], v[92:93], -v[184:185]
	v_lshlrev_b64_e32 v[177:178], 4, v[177:178]
	v_mov_b32_e32 v180, v182
	v_lshlrev_b64_e32 v[157:158], 4, v[157:158]
	v_mov_b32_e32 v182, v183
	v_fma_f64 v[106:107], v[107:108], v[84:85], -v[200:201]
	v_fma_f64 v[98:99], v[127:128], v[52:53], -v[192:193]
	;; [unrolled: 1-line block ×3, first 2 shown]
	v_add_co_u32 v135, vcc_lo, v204, v147
	v_fma_f64 v[109:110], v[109:110], v[68:69], -v[196:197]
	s_wait_alu 0xfffd
	v_add_co_ci_u32_e32 v136, vcc_lo, v205, v148, vcc_lo
	v_fma_f64 v[24:25], v[24:25], v[52:53], v[54:55]
	v_fma_f64 v[26:27], v[26:27], v[44:45], v[46:47]
	;; [unrolled: 1-line block ×4, first 2 shown]
	v_fma_f64 v[94:95], v[141:142], v[88:89], -v[186:187]
	s_wait_loadcnt 0x2
	v_mul_f64_e32 v[141:142], v[16:17], v[82:83]
	v_fma_f64 v[38:39], v[38:39], v[88:89], v[90:91]
	s_wait_loadcnt 0x1
	v_mul_f64_e32 v[88:89], v[20:21], v[62:63]
	v_fma_f64 v[90:91], v[113:114], v[96:97], -v[188:189]
	v_fma_f64 v[96:97], v[129:130], v[44:45], -v[190:191]
	v_mul_f64_e32 v[82:83], v[123:124], v[82:83]
	s_wait_loadcnt 0x0
	v_mul_f64_e32 v[129:130], v[18:19], v[58:59]
	v_mul_f64_e32 v[62:63], v[115:116], v[62:63]
	;; [unrolled: 1-line block ×5, first 2 shown]
	v_fma_f64 v[28:29], v[28:29], v[84:85], v[86:87]
	v_fma_f64 v[30:31], v[30:31], v[68:69], v[70:71]
	;; [unrolled: 1-line block ×3, first 2 shown]
	v_fma_f64 v[113:114], v[137:138], v[48:49], -v[194:195]
	v_fma_f64 v[34:35], v[34:35], v[48:49], v[50:51]
	v_fma_f64 v[84:85], v[117:118], v[76:77], -v[202:203]
	v_add_co_u32 v137, vcc_lo, v204, v149
	s_wait_alu 0xfffd
	v_add_co_ci_u32_e32 v138, vcc_lo, v205, v150, vcc_lo
	v_add_co_u32 v147, vcc_lo, v204, v151
	s_wait_alu 0xfffd
	v_add_co_ci_u32_e32 v148, vcc_lo, v205, v152, vcc_lo
	;; [unrolled: 3-line block ×3, first 2 shown]
	v_add_co_u32 v86, vcc_lo, v204, v155
	v_add_f64_e32 v[54:55], v[109:110], v[127:128]
	s_wait_alu 0xfffd
	v_add_co_ci_u32_e32 v87, vcc_lo, v205, v156, vcc_lo
	v_add_f64_e32 v[155:156], v[133:134], v[98:99]
	v_add_f64_e32 v[48:49], v[2:3], v[36:37]
	v_add_f64_e64 v[76:77], v[2:3], -v[36:37]
	v_fma_f64 v[123:124], v[123:124], v[80:81], -v[141:142]
	v_fma_f64 v[44:45], v[115:116], v[60:61], -v[88:89]
	v_add_f64_e32 v[78:79], v[40:41], v[90:91]
	v_add_f64_e32 v[151:152], v[119:120], v[96:97]
	v_fma_f64 v[16:17], v[16:17], v[80:81], v[82:83]
	v_fma_f64 v[46:47], v[125:126], v[56:57], -v[129:130]
	v_fma_f64 v[20:21], v[20:21], v[60:61], v[62:63]
	v_fma_f64 v[68:69], v[18:19], v[56:57], v[58:59]
	v_fma_f64 v[66:67], v[102:103], v[72:73], -v[92:93]
	v_fma_f64 v[70:71], v[100:101], v[72:73], v[74:75]
	v_add_f64_e32 v[18:19], v[90:91], v[139:140]
	v_add_f64_e32 v[56:57], v[106:107], v[94:95]
	;; [unrolled: 1-line block ×6, first 2 shown]
	v_add_f64_e64 v[80:81], v[90:91], -v[139:140]
	v_add_co_u32 v92, vcc_lo, v204, v159
	s_wait_alu 0xfffd
	v_add_co_ci_u32_e32 v93, vcc_lo, v205, v160, vcc_lo
	v_add_co_u32 v88, vcc_lo, v204, v161
	s_wait_alu 0xfffd
	v_add_co_ci_u32_e32 v89, vcc_lo, v205, v162, vcc_lo
	;; [unrolled: 3-line block ×4, first 2 shown]
	v_add_co_u32 v115, vcc_lo, v204, v167
	v_add_f64_e32 v[82:83], v[12:13], v[2:3]
	s_wait_alu 0xfffd
	v_add_co_ci_u32_e32 v116, vcc_lo, v205, v168, vcc_lo
	v_add_f64_e32 v[50:51], v[96:97], v[123:124]
	v_add_f64_e32 v[161:162], v[8:9], v[30:31]
	v_add_f64_e64 v[167:168], v[30:31], -v[32:33]
	v_fma_f64 v[30:31], v[48:49], -0.5, v[12:13]
	v_add_f64_e32 v[64:65], v[26:27], v[16:17]
	v_add_f64_e32 v[90:91], v[44:45], v[46:47]
	v_add_f64_e64 v[141:142], v[26:27], -v[16:17]
	v_add_f64_e32 v[129:130], v[20:21], v[68:69]
	v_add_f64_e32 v[72:73], v[84:85], v[66:67]
	;; [unrolled: 1-line block ×4, first 2 shown]
	v_fma_f64 v[40:41], v[18:19], -0.5, v[40:41]
	v_add_co_u32 v117, vcc_lo, v204, v169
	v_add_f64_e64 v[153:154], v[24:25], -v[34:35]
	v_add_f64_e32 v[24:25], v[10:11], v[24:25]
	v_add_f64_e32 v[163:164], v[42:43], v[106:107]
	;; [unrolled: 1-line block ×3, first 2 shown]
	s_wait_alu 0xfffd
	v_add_co_ci_u32_e32 v118, vcc_lo, v205, v170, vcc_lo
	v_add_f64_e64 v[169:170], v[28:29], -v[38:39]
	v_fma_f64 v[42:43], v[56:57], -0.5, v[42:43]
	v_add_f64_e64 v[56:57], v[106:107], -v[94:95]
	v_fma_f64 v[58:59], v[58:59], -0.5, v[14:15]
	v_add_f64_e32 v[125:126], v[121:122], v[44:45]
	v_add_f64_e32 v[159:160], v[131:132], v[109:110]
	v_fma_f64 v[54:55], v[54:55], -0.5, v[131:132]
	v_add_f64_e64 v[108:109], v[109:110], -v[127:128]
	v_fma_f64 v[60:61], v[60:61], -0.5, v[8:9]
	v_fma_f64 v[133:134], v[52:53], -0.5, v[133:134]
	v_add_f64_e64 v[98:99], v[98:99], -v[113:114]
	v_fma_f64 v[62:63], v[62:63], -0.5, v[10:11]
	v_add_f64_e32 v[131:132], v[111:112], v[84:85]
	v_add_f64_e64 v[184:185], v[84:85], -v[66:67]
	v_add_f64_e64 v[84:85], v[96:97], -v[123:124]
	;; [unrolled: 1-line block ×4, first 2 shown]
	v_add_f64_e32 v[2:3], v[78:79], v[139:140]
	v_fma_f64 v[119:120], v[50:51], -0.5, v[119:120]
	v_add_f64_e32 v[96:97], v[0:1], v[22:23]
	v_add_f64_e32 v[186:187], v[6:7], v[20:21]
	v_add_f64_e64 v[106:107], v[22:23], -v[70:71]
	v_fma_f64 v[4:5], v[64:65], -0.5, v[4:5]
	v_fma_f64 v[78:79], v[90:91], -0.5, v[121:122]
	v_add_f64_e32 v[18:19], v[161:162], v[32:33]
	v_fma_f64 v[90:91], v[129:130], -0.5, v[6:7]
	v_fma_f64 v[110:111], v[72:73], -0.5, v[111:112]
	;; [unrolled: 1-line block ×3, first 2 shown]
	v_add_f64_e32 v[0:1], v[82:83], v[36:37]
	v_add_f64_e32 v[10:11], v[26:27], v[16:17]
	s_wait_alu 0xfffe
	v_fma_f64 v[32:33], v[76:77], s[2:3], v[40:41]
	v_fma_f64 v[26:27], v[80:81], s[2:3], v[30:31]
	;; [unrolled: 1-line block ×4, first 2 shown]
	v_add_f64_e32 v[14:15], v[24:25], v[34:35]
	v_add_f64_e32 v[24:25], v[163:164], v[94:95]
	;; [unrolled: 1-line block ×5, first 2 shown]
	v_fma_f64 v[52:53], v[169:170], s[2:3], v[42:43]
	v_fma_f64 v[48:49], v[169:170], s[0:1], v[42:43]
	;; [unrolled: 1-line block ×3, first 2 shown]
	v_add_f64_e32 v[8:9], v[125:126], v[46:47]
	v_fma_f64 v[46:47], v[56:57], s[2:3], v[58:59]
	v_add_f64_e32 v[20:21], v[159:160], v[127:128]
	v_fma_f64 v[44:45], v[167:168], s[0:1], v[54:55]
	v_fma_f64 v[56:57], v[167:168], s[2:3], v[54:55]
	;; [unrolled: 1-line block ×10, first 2 shown]
	v_add_f64_e32 v[6:7], v[186:187], v[68:69]
	v_add_f64_e32 v[68:69], v[131:132], v[66:67]
	v_fma_f64 v[62:63], v[84:85], s[0:1], v[4:5]
	v_fma_f64 v[34:35], v[84:85], s[2:3], v[4:5]
	;; [unrolled: 1-line block ×6, first 2 shown]
	v_add_f64_e32 v[66:67], v[96:97], v[70:71]
	v_fma_f64 v[76:77], v[106:107], s[2:3], v[110:111]
	v_fma_f64 v[70:71], v[184:185], s[2:3], v[74:75]
	;; [unrolled: 1-line block ×4, first 2 shown]
	v_add_co_u32 v4, vcc_lo, v204, v171
	s_wait_alu 0xfffd
	v_add_co_ci_u32_e32 v5, vcc_lo, v205, v172, vcc_lo
	v_add_co_u32 v94, vcc_lo, v204, v173
	s_wait_alu 0xfffd
	v_add_co_ci_u32_e32 v95, vcc_lo, v205, v174, vcc_lo
	;; [unrolled: 3-line block ×3, first 2 shown]
	s_clause 0xf
	global_store_b128 v[104:105], v[0:3], off
	global_store_b128 v[143:144], v[30:33], off
	;; [unrolled: 1-line block ×16, first 2 shown]
	v_add_co_u32 v0, vcc_lo, v204, v177
	v_lshlrev_b64_e32 v[2:3], 4, v[179:180]
	s_wait_alu 0xfffd
	v_add_co_ci_u32_e32 v1, vcc_lo, v205, v178, vcc_lo
	v_add_co_u32 v4, vcc_lo, v204, v157
	v_lshlrev_b64_e32 v[6:7], 4, v[181:182]
	s_wait_alu 0xfffd
	v_add_co_ci_u32_e32 v5, vcc_lo, v205, v158, vcc_lo
	v_add_co_u32 v2, vcc_lo, v204, v2
	s_wait_alu 0xfffd
	v_add_co_ci_u32_e32 v3, vcc_lo, v205, v3, vcc_lo
	v_add_co_u32 v6, vcc_lo, v204, v6
	s_wait_alu 0xfffd
	v_add_co_ci_u32_e32 v7, vcc_lo, v205, v7, vcc_lo
	s_clause 0x4
	global_store_b128 v[98:99], v[82:85], off
	global_store_b128 v[0:1], v[78:81], off
	;; [unrolled: 1-line block ×5, first 2 shown]
.LBB0_21:
	s_nop 0
	s_sendmsg sendmsg(MSG_DEALLOC_VGPRS)
	s_endpgm
	.section	.rodata,"a",@progbits
	.p2align	6, 0x0
	.amdhsa_kernel fft_rtc_back_len1911_factors_13_7_7_3_wgs_91_tpt_91_halfLds_dp_op_CI_CI_sbrr_dirReg
		.amdhsa_group_segment_fixed_size 0
		.amdhsa_private_segment_fixed_size 0
		.amdhsa_kernarg_size 104
		.amdhsa_user_sgpr_count 2
		.amdhsa_user_sgpr_dispatch_ptr 0
		.amdhsa_user_sgpr_queue_ptr 0
		.amdhsa_user_sgpr_kernarg_segment_ptr 1
		.amdhsa_user_sgpr_dispatch_id 0
		.amdhsa_user_sgpr_private_segment_size 0
		.amdhsa_wavefront_size32 1
		.amdhsa_uses_dynamic_stack 0
		.amdhsa_enable_private_segment 0
		.amdhsa_system_sgpr_workgroup_id_x 1
		.amdhsa_system_sgpr_workgroup_id_y 0
		.amdhsa_system_sgpr_workgroup_id_z 0
		.amdhsa_system_sgpr_workgroup_info 0
		.amdhsa_system_vgpr_workitem_id 0
		.amdhsa_next_free_vgpr 208
		.amdhsa_next_free_sgpr 48
		.amdhsa_reserve_vcc 1
		.amdhsa_float_round_mode_32 0
		.amdhsa_float_round_mode_16_64 0
		.amdhsa_float_denorm_mode_32 3
		.amdhsa_float_denorm_mode_16_64 3
		.amdhsa_fp16_overflow 0
		.amdhsa_workgroup_processor_mode 1
		.amdhsa_memory_ordered 1
		.amdhsa_forward_progress 0
		.amdhsa_round_robin_scheduling 0
		.amdhsa_exception_fp_ieee_invalid_op 0
		.amdhsa_exception_fp_denorm_src 0
		.amdhsa_exception_fp_ieee_div_zero 0
		.amdhsa_exception_fp_ieee_overflow 0
		.amdhsa_exception_fp_ieee_underflow 0
		.amdhsa_exception_fp_ieee_inexact 0
		.amdhsa_exception_int_div_zero 0
	.end_amdhsa_kernel
	.text
.Lfunc_end0:
	.size	fft_rtc_back_len1911_factors_13_7_7_3_wgs_91_tpt_91_halfLds_dp_op_CI_CI_sbrr_dirReg, .Lfunc_end0-fft_rtc_back_len1911_factors_13_7_7_3_wgs_91_tpt_91_halfLds_dp_op_CI_CI_sbrr_dirReg
                                        ; -- End function
	.section	.AMDGPU.csdata,"",@progbits
; Kernel info:
; codeLenInByte = 18416
; NumSgprs: 50
; NumVgprs: 208
; ScratchSize: 0
; MemoryBound: 1
; FloatMode: 240
; IeeeMode: 1
; LDSByteSize: 0 bytes/workgroup (compile time only)
; SGPRBlocks: 6
; VGPRBlocks: 25
; NumSGPRsForWavesPerEU: 50
; NumVGPRsForWavesPerEU: 208
; Occupancy: 7
; WaveLimiterHint : 1
; COMPUTE_PGM_RSRC2:SCRATCH_EN: 0
; COMPUTE_PGM_RSRC2:USER_SGPR: 2
; COMPUTE_PGM_RSRC2:TRAP_HANDLER: 0
; COMPUTE_PGM_RSRC2:TGID_X_EN: 1
; COMPUTE_PGM_RSRC2:TGID_Y_EN: 0
; COMPUTE_PGM_RSRC2:TGID_Z_EN: 0
; COMPUTE_PGM_RSRC2:TIDIG_COMP_CNT: 0
	.text
	.p2alignl 7, 3214868480
	.fill 96, 4, 3214868480
	.type	__hip_cuid_45e271cdf3efca5a,@object ; @__hip_cuid_45e271cdf3efca5a
	.section	.bss,"aw",@nobits
	.globl	__hip_cuid_45e271cdf3efca5a
__hip_cuid_45e271cdf3efca5a:
	.byte	0                               ; 0x0
	.size	__hip_cuid_45e271cdf3efca5a, 1

	.ident	"AMD clang version 19.0.0git (https://github.com/RadeonOpenCompute/llvm-project roc-6.4.0 25133 c7fe45cf4b819c5991fe208aaa96edf142730f1d)"
	.section	".note.GNU-stack","",@progbits
	.addrsig
	.addrsig_sym __hip_cuid_45e271cdf3efca5a
	.amdgpu_metadata
---
amdhsa.kernels:
  - .args:
      - .actual_access:  read_only
        .address_space:  global
        .offset:         0
        .size:           8
        .value_kind:     global_buffer
      - .offset:         8
        .size:           8
        .value_kind:     by_value
      - .actual_access:  read_only
        .address_space:  global
        .offset:         16
        .size:           8
        .value_kind:     global_buffer
      - .actual_access:  read_only
        .address_space:  global
        .offset:         24
        .size:           8
        .value_kind:     global_buffer
      - .actual_access:  read_only
        .address_space:  global
        .offset:         32
        .size:           8
        .value_kind:     global_buffer
      - .offset:         40
        .size:           8
        .value_kind:     by_value
      - .actual_access:  read_only
        .address_space:  global
        .offset:         48
        .size:           8
        .value_kind:     global_buffer
      - .actual_access:  read_only
        .address_space:  global
        .offset:         56
        .size:           8
        .value_kind:     global_buffer
      - .offset:         64
        .size:           4
        .value_kind:     by_value
      - .actual_access:  read_only
        .address_space:  global
        .offset:         72
        .size:           8
        .value_kind:     global_buffer
      - .actual_access:  read_only
        .address_space:  global
        .offset:         80
        .size:           8
        .value_kind:     global_buffer
      - .actual_access:  read_only
        .address_space:  global
        .offset:         88
        .size:           8
        .value_kind:     global_buffer
      - .actual_access:  write_only
        .address_space:  global
        .offset:         96
        .size:           8
        .value_kind:     global_buffer
    .group_segment_fixed_size: 0
    .kernarg_segment_align: 8
    .kernarg_segment_size: 104
    .language:       OpenCL C
    .language_version:
      - 2
      - 0
    .max_flat_workgroup_size: 91
    .name:           fft_rtc_back_len1911_factors_13_7_7_3_wgs_91_tpt_91_halfLds_dp_op_CI_CI_sbrr_dirReg
    .private_segment_fixed_size: 0
    .sgpr_count:     50
    .sgpr_spill_count: 0
    .symbol:         fft_rtc_back_len1911_factors_13_7_7_3_wgs_91_tpt_91_halfLds_dp_op_CI_CI_sbrr_dirReg.kd
    .uniform_work_group_size: 1
    .uses_dynamic_stack: false
    .vgpr_count:     208
    .vgpr_spill_count: 0
    .wavefront_size: 32
    .workgroup_processor_mode: 1
amdhsa.target:   amdgcn-amd-amdhsa--gfx1201
amdhsa.version:
  - 1
  - 2
...

	.end_amdgpu_metadata
